;; amdgpu-corpus repo=ROCm/aiter kind=harvested arch=n/a opt=n/a

/root/src/amdgpu-assembly/repos/ROCm__aiter/hsa/gfx942/fmha_v3_bwd/bwd_hd64_bf16_causal_a32_rtna_pssk_group.co:	file format elf64-amdgpu

Disassembly of section .text:

0000000000003e00 <_ZN5aiter45fmha_bwd_hd64_bf16_causal_a32_rtna_pssk_groupE>:
	s_and_b32 s1, s1, 0xffff                                   // 000000003E00: 8601FF01 0000FFFF
	s_load_dwordx2 s[32:33], s[0:1], 0x0                       // 000000003E08: C0060800 00000000
	s_load_dwordx2 s[36:37], s[0:1], 0x10                      // 000000003E10: C0060900 00000010
	s_load_dwordx2 s[40:41], s[0:1], 0x20                      // 000000003E18: C0060A00 00000020
	s_load_dwordx2 s[8:9], s[0:1], 0x30                        // 000000003E20: C0060200 00000030
	s_load_dwordx2 s[12:13], s[0:1], 0x40                      // 000000003E28: C0060300 00000040
	s_load_dwordx2 s[16:17], s[0:1], 0x50                      // 000000003E30: C0060400 00000050
	s_load_dwordx2 s[20:21], s[0:1], 0x60                      // 000000003E38: C0060500 00000060
	s_load_dwordx2 s[24:25], s[0:1], 0x70                      // 000000003E40: C0060600 00000070
	s_load_dwordx2 s[28:29], s[0:1], 0x80                      // 000000003E48: C0060700 00000080
	s_load_dword s47, s[0:1], 0x90                             // 000000003E50: C0020BC0 00000090
	s_load_dword s48, s[0:1], 0xa0                             // 000000003E58: C0020C00 000000A0
	s_load_dword s78, s[0:1], 0xd0                             // 000000003E60: C0021380 000000D0
	s_load_dword s5, s[0:1], 0xf0                              // 000000003E68: C0020140 000000F0
	s_load_dword s44, s[0:1], 0x100                            // 000000003E70: C0020B00 00000100
	s_load_dword s79, s[0:1], 0x110                            // 000000003E78: C00213C0 00000110
	s_load_dword s6, s[0:1], 0x130                             // 000000003E80: C0020180 00000130
	s_load_dword s52, s[0:1], 0x140                            // 000000003E88: C0020D00 00000140
	s_load_dword s80, s[0:1], 0x190                            // 000000003E90: C0021400 00000190
	s_load_dword s7, s[0:1], 0x1b0                             // 000000003E98: C00201C0 000001B0
	s_load_dword s81, s[0:1], 0x1c0                            // 000000003EA0: C0021440 000001C0
	s_load_dword s51, s[0:1], 0x1e0                            // 000000003EA8: C0020CC0 000001E0
	s_load_dword s82, s[0:1], 0x1f0                            // 000000003EB0: C0021480 000001F0
	s_load_dword s83, s[0:1], 0x210                            // 000000003EB8: C00214C0 00000210
	s_load_dword s53, s[0:1], 0x230                            // 000000003EC0: C0020D40 00000230
	s_load_dword s49, s[0:1], 0x240                            // 000000003EC8: C0020C40 00000240
	s_load_dwordx2 s[88:89], s[0:1], 0x250                     // 000000003ED0: C0061600 00000250
	s_load_dwordx2 s[92:93], s[0:1], 0x260                     // 000000003ED8: C0061700 00000260
	s_load_dwordx2 s[96:97], s[0:1], 0x270                     // 000000003EE0: C0061800 00000270
	s_load_dwordx2 s[100:101], s[0:1], 0x280                   // 000000003EE8: C0061900 00000280
	v_lshrrev_b32_e32 v1, 10, v0                               // 000000003EF0: 2002008A
	v_lshrrev_b32_e32 v2, 10, v1                               // 000000003EF4: 2004028A
	v_and_b32_e32 v2, 0x3ff, v2                                // 000000003EF8: 260404FF 000003FF
	v_and_b32_e32 v1, 0x3ff, v1                                // 000000003F00: 260202FF 000003FF
	v_and_b32_e32 v0, 0x3ff, v0                                // 000000003F08: 260000FF 000003FF
	v_lshrrev_b32_e32 v3, 6, v0                                // 000000003F10: 20060086
	v_and_b32_e32 v0, 63, v0                                   // 000000003F14: 260000BF
	s_mov_b32 s2, s2                                           // 000000003F18: BE820002
	s_mov_b32 s3, s3                                           // 000000003F1C: BE830003
	s_mov_b32 s4, s4                                           // 000000003F20: BE840004
	v_readfirstlane_b32 s46, v3                                // 000000003F24: 7E5C0503
	s_waitcnt lgkmcnt(0)                                       // 000000003F28: BF8CC07F
	s_mul_i32 s60, s4, 4                                       // 000000003F2C: 923C8404
	s_add_u32 s88, s60, s88                                    // 000000003F30: 8058583C
	s_addc_u32 s89, 0, s89                                     // 000000003F34: 82595980
	s_load_dwordx2 s[84:85], s[88:89], 0x0                     // 000000003F38: C006152C 00000000
	s_add_u32 s96, s60, s96                                    // 000000003F40: 8060603C
	s_addc_u32 s97, 0, s97                                     // 000000003F44: 82616180
	s_load_dword s90, s[96:97], 0x0                            // 000000003F48: C00216B0 00000000
	s_add_u32 s92, s60, s92                                    // 000000003F50: 805C5C3C
	s_addc_u32 s93, 0, s93                                     // 000000003F54: 825D5D80
	s_load_dwordx2 s[86:87], s[92:93], 0x0                     // 000000003F58: C00615AE 00000000
	s_add_u32 s100, s60, s100                                  // 000000003F60: 8064643C
	s_addc_u32 s101, 0, s101                                   // 000000003F64: 82656580
	s_load_dword s94, s[100:101], 0x0                          // 000000003F68: C00217B2 00000000
	s_mov_b32 s11, 0x20000                                     // 000000003F70: BE8B00FF 00020000
	s_mov_b32 s15, 0x20000                                     // 000000003F78: BE8F00FF 00020000
	s_mov_b32 s19, 0x20000                                     // 000000003F80: BE9300FF 00020000
	s_mov_b32 s23, 0x20000                                     // 000000003F88: BE9700FF 00020000
	s_mov_b32 s27, 0x20000                                     // 000000003F90: BE9B00FF 00020000
	s_mov_b32 s31, 0x20000                                     // 000000003F98: BE9F00FF 00020000
	s_mov_b32 s35, 0x20000                                     // 000000003FA0: BEA300FF 00020000
	s_mov_b32 s39, 0x20000                                     // 000000003FA8: BEA700FF 00020000
	s_mov_b32 s43, 0x20000                                     // 000000003FB0: BEAB00FF 00020000
	s_and_b32 s9, s9, 0xffff                                   // 000000003FB8: 8609FF09 0000FFFF
	s_and_b32 s13, s13, 0xffff                                 // 000000003FC0: 860DFF0D 0000FFFF
	s_and_b32 s17, s17, 0xffff                                 // 000000003FC8: 8611FF11 0000FFFF
	s_and_b32 s21, s21, 0xffff                                 // 000000003FD0: 8615FF15 0000FFFF
	s_and_b32 s25, s25, 0xffff                                 // 000000003FD8: 8619FF19 0000FFFF
	s_and_b32 s29, s29, 0xffff                                 // 000000003FE0: 861DFF1D 0000FFFF
	s_and_b32 s33, s33, 0xffff                                 // 000000003FE8: 8621FF21 0000FFFF
	s_and_b32 s37, s37, 0xffff                                 // 000000003FF0: 8625FF25 0000FFFF
	s_and_b32 s41, s41, 0xffff                                 // 000000003FF8: 8629FF29 0000FFFF
	s_or_b32 s9, s9, 0x40000                                   // 000000004000: 8709FF09 00040000
	s_or_b32 s13, s13, 0x40000                                 // 000000004008: 870DFF0D 00040000
	s_or_b32 s17, s17, 0x40000                                 // 000000004010: 8711FF11 00040000
	s_or_b32 s21, s21, 0x40000                                 // 000000004018: 8715FF15 00040000
	s_or_b32 s25, s25, 0x40000                                 // 000000004020: 8719FF19 00040000
	s_or_b32 s29, s29, 0x40000                                 // 000000004028: 871DFF1D 00040000
	s_or_b32 s33, s33, 0x40000                                 // 000000004030: 8721FF21 00040000
	s_or_b32 s37, s37, 0x40000                                 // 000000004038: 8725FF25 00040000
	s_or_b32 s41, s41, 0x40000                                 // 000000004040: 8729FF29 00040000
	v_accvgpr_write_b32 a159, 0                                // 000000004048: D3D9409F 18000080
	v_mov_b32_e32 v235, 0                                      // 000000004050: 7FD60280
	s_mov_b32 s71, s3                                          // 000000004054: BEC70003
	v_cvt_f32_u32_e32 v32, s44                                 // 000000004058: 7E400C2C
	s_sub_i32 s60, 0, s44                                      // 00000000405C: 81BC2C80
	v_rcp_iflag_f32_e32 v32, v32                               // 000000004060: 7E404720
	s_nop 0                                                    // 000000004064: BF800000
	v_mul_f32_e32 v32, 0x4f7ffffe, v32                         // 000000004068: 0A4040FF 4F7FFFFE
	v_cvt_u32_f32_e32 v32, v32                                 // 000000004070: 7E400F20
	v_mul_lo_u32 v33, s60, v32                                 // 000000004074: D2850021 0002403C
	v_mul_hi_u32 v33, v32, v33                                 // 00000000407C: D2860021 00024320
	v_add_u32_e32 v32, v32, v33                                // 000000004084: 68404320
	v_mul_hi_u32 v32, s71, v32                                 // 000000004088: D2860020 00024047
	v_mul_lo_u32 v33, v32, s44                                 // 000000004090: D2850021 00005920
	v_sub_u32_e32 v35, s71, v33                                // 000000004098: 6A464247
	v_add_u32_e32 v34, 1, v32                                  // 00000000409C: 68444081
	v_cmp_le_u32_e32 vcc, s44, v35                             // 0000000040A0: 7D96462C
	v_subrev_u32_e32 v33, s44, v35                             // 0000000040A4: 6C42462C
	s_nop 0                                                    // 0000000040A8: BF800000
	v_cndmask_b32_e32 v32, v32, v34, vcc                       // 0000000040AC: 00404520
	v_cndmask_b32_e32 v35, v35, v33, vcc                       // 0000000040B0: 00464323
	v_add_u32_e32 v33, 1, v32                                  // 0000000040B4: 68424081
	v_cmp_le_u32_e32 vcc, s44, v35                             // 0000000040B8: 7D96462C
	s_nop 1                                                    // 0000000040BC: BF800001
	v_cndmask_b32_e32 v35, v32, v33, vcc                       // 0000000040C0: 00464320
	s_nop 3                                                    // 0000000040C4: BF800003
	v_readfirstlane_b32 s45, v35                               // 0000000040C8: 7E5A0523
	s_nop 3                                                    // 0000000040CC: BF800003
	s_waitcnt lgkmcnt(0)                                       // 0000000040D0: BF8CC07F
	s_mul_i32 s61, s2, 0x180                                   // 0000000040D4: 923DFF02 00000180
	s_sub_i32 s87, s87, s86                                    // 0000000040DC: 81D75657
	s_mov_b32 s86, s94                                         // 0000000040E0: BED6005E
	s_sub_i32 s85, s85, s84                                    // 0000000040E4: 81D55455
	s_mov_b32 s84, s90                                         // 0000000040E8: BED4005A
	s_cmp_gt_i32 s85, 0                                        // 0000000040EC: BF028055
	s_cbranch_scc0 label_2114                                  // 0000000040F0: BF842033
	s_mov_b32 s59, 0                                           // 0000000040F4: BEBB0080
	s_mov_b32 s58, s85                                         // 0000000040F8: BEBA0055
	s_cmp_ge_i32 s61, s87                                      // 0000000040FC: BF03573D
	s_cbranch_scc1 label_2114                                  // 000000004100: BF85202F
	s_mul_i32 s61, s45, s79                                    // 000000004104: 923D4F2D
	s_mov_b32 s54, s61                                         // 000000004108: BEB6003D
	s_add_u32 s12, s54, s12                                    // 00000000410C: 800C0C36
	s_addc_u32 s13, 0, s13                                     // 000000004110: 820D0D80
	s_mul_i32 s60, s86, s6                                     // 000000004114: 923C0656
	s_mul_hi_u32 s61, s86, s6                                  // 000000004118: 963D0656
	s_and_b32 s61, s61, 0xffff                                 // 00000000411C: 863DFF3D 0000FFFF
	s_add_u32 s12, s12, s60                                    // 000000004124: 800C3C0C
	s_addc_u32 s13, s13, s61                                   // 000000004128: 820D3D0D
	s_mul_i32 s61, s45, s80                                    // 00000000412C: 923D502D
	s_mov_b32 s54, s61                                         // 000000004130: BEB6003D
	s_add_u32 s16, s54, s16                                    // 000000004134: 80101036
	s_addc_u32 s17, 0, s17                                     // 000000004138: 82111180
	s_mul_i32 s60, s86, s7                                     // 00000000413C: 923C0756
	s_mul_hi_u32 s61, s86, s7                                  // 000000004140: 963D0756
	s_and_b32 s61, s61, 0xffff                                 // 000000004144: 863DFF3D 0000FFFF
	s_add_u32 s16, s16, s60                                    // 00000000414C: 80103C10
	s_addc_u32 s17, s17, s61                                   // 000000004150: 82113D11
	s_mul_i32 s61, s3, s78                                     // 000000004154: 923D4E03
	s_mov_b32 s55, s61                                         // 000000004158: BEB7003D
	s_add_u32 s8, s55, s8                                      // 00000000415C: 80080837
	s_addc_u32 s9, 0, s9                                       // 000000004160: 82090980
	s_mul_i32 s60, s84, s5                                     // 000000004164: 923C0554
	s_mul_hi_u32 s61, s84, s5                                  // 000000004168: 963D0554
	s_and_b32 s61, s61, 0xffff                                 // 00000000416C: 863DFF3D 0000FFFF
	s_add_u32 s8, s8, s60                                      // 000000004174: 80083C08
	s_addc_u32 s9, s9, s61                                     // 000000004178: 82093D09
	s_mul_i32 s61, s3, s81                                     // 00000000417C: 923D5103
	s_mov_b32 s56, s61                                         // 000000004180: BEB8003D
	s_add_u32 s20, s56, s20                                    // 000000004184: 80141438
	s_addc_u32 s21, 0, s21                                     // 000000004188: 82151580
	s_mul_i32 s60, s84, s51                                    // 00000000418C: 923C3354
	s_mul_hi_u32 s61, s84, s51                                 // 000000004190: 963D3354
	s_and_b32 s61, s61, 0xffff                                 // 000000004194: 863DFF3D 0000FFFF
	s_add_u32 s20, s20, s60                                    // 00000000419C: 80143C14
	s_addc_u32 s21, s21, s61                                   // 0000000041A0: 82153D15
	s_mul_i32 s62, 4, s84                                      // 0000000041A4: 923E5484
	s_mul_i32 s61, s3, s49                                     // 0000000041A8: 923D3103
	s_add_u32 s65, s61, s62                                    // 0000000041AC: 80413E3D
	s_mov_b32 s26, s85                                         // 0000000041B0: BE9A0055
	s_mov_b32 s30, s85                                         // 0000000041B4: BE9E0055
	s_add_u32 s24, s65, s24                                    // 0000000041B8: 80181841
	s_addc_u32 s25, 0, s25                                     // 0000000041BC: 82191980
	s_add_u32 s28, s65, s28                                    // 0000000041C0: 801C1C41
	s_addc_u32 s29, 0, s29                                     // 0000000041C4: 821D1D80
	s_mul_i32 s61, s3, s82                                     // 0000000041C8: 923D5203
	s_mul_i32 s62, s86, s52                                    // 0000000041CC: 923E3456
	s_add_u32 s60, s61, s62                                    // 0000000041D0: 803C3E3D
	s_mul_hi_u32 s61, s86, s52                                 // 0000000041D4: 963D3456
	s_and_b32 s61, s61, 0xffff                                 // 0000000041D8: 863DFF3D 0000FFFF
	s_add_u32 s36, s60, s36                                    // 0000000041E0: 8024243C
	s_addc_u32 s37, s61, s37                                   // 0000000041E4: 8225253D
	s_mul_i32 s60, s87, s52                                    // 0000000041E8: 923C3457
	s_lshr_b32 s60, s60, 2                                     // 0000000041EC: 8F3C823C
	s_mov_b32 s38, s60                                         // 0000000041F0: BEA6003C
	s_mul_i32 s61, s3, s83                                     // 0000000041F4: 923D5303
	s_mul_i32 s62, s86, s53                                    // 0000000041F8: 923E3556
	s_add_u32 s60, s61, s62                                    // 0000000041FC: 803C3E3D
	s_mul_hi_u32 s61, s86, s53                                 // 000000004200: 963D3556
	s_and_b32 s61, s61, 0xffff                                 // 000000004204: 863DFF3D 0000FFFF
	s_add_u32 s40, s60, s40                                    // 00000000420C: 8028283C
	s_addc_u32 s41, s61, s41                                   // 000000004210: 8229293D
	s_mul_i32 s60, s87, s53                                    // 000000004214: 923C3557
	s_lshr_b32 s60, s60, 2                                     // 000000004218: 8F3C823C
	s_mov_b32 s42, s60                                         // 00000000421C: BEAA003C
	s_mul_i32 s60, 64, s65                                     // 000000004220: 923C41C0
	s_mul_hi_u32 s61, 64, s65                                  // 000000004224: 963D41C0
	s_and_b32 s61, s61, 0xffff                                 // 000000004228: 863DFF3D 0000FFFF
	s_add_u32 s32, s60, s32                                    // 000000004230: 8020203C
	s_addc_u32 s33, s61, s33                                   // 000000004234: 8221213D
	s_mul_i32 s60, 64, s85                                     // 000000004238: 923C55C0
	s_mov_b32 s34, s60                                         // 00000000423C: BEA2003C
	s_mov_b32 s90, s8                                          // 000000004240: BEDA0008
	s_mov_b32 s94, s12                                         // 000000004244: BEDE000C
	s_mov_b32 s96, s16                                         // 000000004248: BEE00010
	s_mov_b32 s98, s20                                         // 00000000424C: BEE20014
	s_mov_b32 s91, s9                                          // 000000004250: BEDB0009
	s_mov_b32 s95, s13                                         // 000000004254: BEDF000D
	s_mov_b32 s97, s17                                         // 000000004258: BEE10011
	s_mov_b32 s99, s21                                         // 00000000425C: BEE30015
	s_add_u32 s71, 0xbf, s87                                   // 000000004260: 804757FF 000000BF
	s_mov_b32 s74, 0xc0                                        // 000000004268: BECA00FF 000000C0
	v_cvt_f32_u32_e32 v32, s74                                 // 000000004270: 7E400C4A
	s_sub_i32 s60, 0, s74                                      // 000000004274: 81BC4A80
	v_rcp_iflag_f32_e32 v32, v32                               // 000000004278: 7E404720
	s_nop 0                                                    // 00000000427C: BF800000
	v_mul_f32_e32 v32, 0x4f7ffffe, v32                         // 000000004280: 0A4040FF 4F7FFFFE
	v_cvt_u32_f32_e32 v32, v32                                 // 000000004288: 7E400F20
	v_mul_lo_u32 v33, s60, v32                                 // 00000000428C: D2850021 0002403C
	v_mul_hi_u32 v33, v32, v33                                 // 000000004294: D2860021 00024320
	v_add_u32_e32 v32, v32, v33                                // 00000000429C: 68404320
	v_mul_hi_u32 v32, s71, v32                                 // 0000000042A0: D2860020 00024047
	v_mul_lo_u32 v33, v32, s74                                 // 0000000042A8: D2850021 00009520
	v_sub_u32_e32 v35, s71, v33                                // 0000000042B0: 6A464247
	v_add_u32_e32 v34, 1, v32                                  // 0000000042B4: 68444081
	v_cmp_le_u32_e32 vcc, s74, v35                             // 0000000042B8: 7D96464A
	v_subrev_u32_e32 v33, s74, v35                             // 0000000042BC: 6C42464A
	s_nop 0                                                    // 0000000042C0: BF800000
	v_cndmask_b32_e32 v32, v32, v34, vcc                       // 0000000042C4: 00404520
	v_cndmask_b32_e32 v35, v35, v33, vcc                       // 0000000042C8: 00464323
	v_add_u32_e32 v33, 1, v32                                  // 0000000042CC: 68424081
	v_cmp_le_u32_e32 vcc, s74, v35                             // 0000000042D0: 7D96464A
	s_nop 1                                                    // 0000000042D4: BF800001
	v_cndmask_b32_e32 v35, v32, v33, vcc                       // 0000000042D8: 00464320
	s_nop 3                                                    // 0000000042DC: BF800003
	v_readfirstlane_b32 s77, v35                               // 0000000042E0: 7E9A0523
	s_nop 3                                                    // 0000000042E4: BF800003
	v_mov_b32_e32 v32, s47                                     // 0000000042E8: 7E40022F
	v_mul_f32_e32 v32, s48, v32                                // 0000000042EC: 0A404030
	v_mov_b32_e32 v229, 0xffff0000                             // 0000000042F0: 7FCA02FF FFFF0000
	v_mov_b32_e32 v230, 0x7fff0000                             // 0000000042F8: 7FCC02FF 7FFF0000
	v_mov_b32_e32 v231, 0x7fff                                 // 000000004300: 7FCE02FF 00007FFF
	s_mov_b32 s63, 0x5040100                                   // 000000004308: BEBF00FF 05040100
	s_mov_b32 s64, 0x7060302                                   // 000000004310: BEC000FF 07060302
	v_readfirstlane_b32 s57, v32                               // 000000004318: 7E720520
	v_mov_b32_e32 v34, 0x3020706                               // 00000000431C: 7E4402FF 03020706
	v_mov_b32_e32 v32, s63                                     // 000000004324: 7E40023F
	v_and_b32_e32 v33, 1, v0                                   // 000000004328: 26420081
	v_cmp_eq_u32_e32 vcc, 1, v33                               // 00000000432C: 7D944281
	s_mov_b32 s67, 0x800                                       // 000000004330: BEC300FF 00000800
	v_cndmask_b32_e32 v17, v32, v34, vcc                       // 000000004338: 00224520
	s_cmp_lt_u32 s46, 2                                        // 00000000433C: BF0A822E
	s_cselect_b32 s24, s24, s28                                // 000000004340: 85181C18
	s_cselect_b32 s25, s25, s29                                // 000000004344: 85191D19
	s_cselect_b32 s26, s26, s30                                // 000000004348: 851A1E1A
	s_cselect_b32 s27, s27, s31                                // 00000000434C: 851B1F1B
	s_lshr_b32 s60, s46, 1                                     // 000000004350: 8F3C812E
	s_lshl_b32 s60, s60, 8                                     // 000000004354: 8E3C883C
	s_add_u32 s80, 0x9a00, s60                                 // 000000004358: 80503CFF 00009A00
	s_add_u32 s81, 0x200, s80                                  // 000000004360: 805150FF 00000200
	s_mov_b32 m0, s80                                          // 000000004368: BEFC0050
	s_mov_b32 s75, 0                                           // 00000000436C: BECB0080
	s_mov_b32 s76, 1                                           // 000000004370: BECC0081
	s_lshl_b32 s60, s2, 1                                      // 000000004374: 8E3C8102
	s_add_u32 s60, 1, s60                                      // 000000004378: 803C3C81
	s_cmp_ge_i32 s60, s77                                      // 00000000437C: BF034D3C
	s_cselect_b32 s76, s76, 2                                  // 000000004380: 854C824C

0000000000004384 <label_0161>:
	s_mov_b32 m0, s80                                          // 000000004384: BEFC0050
	s_mov_b32 s66, 0                                           // 000000004388: BEC20080
	v_mov_b32_e32 v178, 0xff800000                             // 00000000438C: 7F6402FF FF800000
	s_mov_b32 s74, 0                                           // 000000004394: BECA0080
	s_mul_i32 s68, 8, s5                                       // 000000004398: 92440588
	s_mul_i32 s100, 8, s51                                     // 00000000439C: 92643388
	s_mov_b32 s69, 32                                          // 0000000043A0: BEC500A0
	s_mul_i32 s59, 0xc0, s2                                    // 0000000043A4: 923B02FF 000000C0
	s_mul_i32 s54, s6, s59                                     // 0000000043AC: 92363B06
	s_sub_i32 s61, s87, s59                                    // 0000000043B0: 81BD3B57
	s_mul_i32 s62, s6, s61                                     // 0000000043B4: 923E3D06
	s_lshr_b32 s62, s62, 2                                     // 0000000043B8: 8F3E823E
	s_mov_b32 s14, s62                                         // 0000000043BC: BE8E003E
	s_add_u32 s12, s54, s94                                    // 0000000043C0: 800C5E36
	s_addc_u32 s13, 0, s95                                     // 0000000043C4: 820D5F80
	s_mul_i32 s54, s7, s59                                     // 0000000043C8: 92363B07
	s_mul_i32 s62, s7, s61                                     // 0000000043CC: 923E3D07
	s_lshr_b32 s62, s62, 2                                     // 0000000043D0: 8F3E823E
	s_mov_b32 s18, s62                                         // 0000000043D4: BE92003E
	s_add_u32 s16, s54, s96                                    // 0000000043D8: 80106036
	s_addc_u32 s17, 0, s97                                     // 0000000043DC: 82116180
	s_mov_b32 s71, s6                                          // 0000000043E0: BEC70006
	v_lshrrev_b32_e32 v32, 4, v0                               // 0000000043E4: 20400084
	v_and_b32_e32 v33, 1, v32                                  // 0000000043E8: 26424081
	v_lshlrev_b32_e32 v33, 1, v33                              // 0000000043EC: 24424281
	v_mul_i32_i24_e32 v33, s71, v33                            // 0000000043F0: 0C424247
	v_and_b32_e32 v34, 2, v32                                  // 0000000043F4: 26444082
	v_lshlrev_b32_e32 v34, 5, v34                              // 0000000043F8: 24444485
	v_add_u32_e32 v33, v34, v33                                // 0000000043FC: 68424322
	v_and_b32_e32 v32, 15, v0                                  // 000000004400: 2640008F
	v_lshlrev_b32_e32 v32, 2, v32                              // 000000004404: 24404082
	v_add_u32_e32 v1, v32, v33                                 // 000000004408: 68024320
	s_mul_i32 s60, s46, s71                                    // 00000000440C: 923C472E
	s_mul_i32 s60, s60, 4                                      // 000000004410: 923C843C
	v_add_u32_e32 v1, s60, v1                                  // 000000004414: 6802023C
	v_add_u32_e32 v2, s71, v1                                  // 000000004418: 68040247
	s_mul_i32 s60, 16, s71                                     // 00000000441C: 923C4790
	v_add_u32_e32 v3, s60, v1                                  // 000000004420: 6806023C
	v_add_u32_e32 v4, s60, v2                                  // 000000004424: 6808043C
	s_mov_b32 s71, s7                                          // 000000004428: BEC70007
	v_lshrrev_b32_e32 v32, 4, v0                               // 00000000442C: 20400084
	v_and_b32_e32 v33, 1, v32                                  // 000000004430: 26424081
	v_lshlrev_b32_e32 v33, 1, v33                              // 000000004434: 24424281
	v_mul_i32_i24_e32 v33, s71, v33                            // 000000004438: 0C424247
	v_and_b32_e32 v34, 2, v32                                  // 00000000443C: 26444082
	v_lshlrev_b32_e32 v34, 5, v34                              // 000000004440: 24444485
	v_add_u32_e32 v33, v34, v33                                // 000000004444: 68424322
	v_and_b32_e32 v32, 15, v0                                  // 000000004448: 2640008F
	v_lshlrev_b32_e32 v32, 2, v32                              // 00000000444C: 24404082
	v_add_u32_e32 v232, v32, v33                               // 000000004450: 69D04320
	s_mul_i32 s60, s46, s71                                    // 000000004454: 923C472E
	s_mul_i32 s60, s60, 4                                      // 000000004458: 923C843C
	v_add_u32_e32 v232, s60, v232                              // 00000000445C: 69D1D03C
	v_add_u32_e32 v233, s71, v232                              // 000000004460: 69D3D047
	s_mul_i32 s60, 16, s71                                     // 000000004464: 923C4790
	v_add_u32_e32 v234, s60, v232                              // 000000004468: 69D5D03C
	v_add_u32_e32 v235, s60, v233                              // 00000000446C: 69D7D23C
	v_lshrrev_b32_e32 v1, 2, v1                                // 000000004470: 20020282
	v_lshrrev_b32_e32 v2, 2, v2                                // 000000004474: 20040482
	v_lshrrev_b32_e32 v232, 2, v232                            // 000000004478: 21D1D082
	v_lshrrev_b32_e32 v233, 2, v233                            // 00000000447C: 21D3D282
	s_mov_b32 s70, s52                                         // 000000004480: BEC60034
	v_lshrrev_b32_e32 v32, 3, v0                               // 000000004484: 20400083
	v_mul_i32_i24_e32 v5, s70, v32                             // 000000004488: 0C0A4046
	v_lshrrev_b32_e32 v5, 2, v5                                // 00000000448C: 200A0A82
	v_and_b32_e32 v32, 7, v0                                   // 000000004490: 26400087
	v_lshlrev_b32_e32 v33, 2, v32                              // 000000004494: 24424082
	v_add_u32_e32 v5, v33, v5                                  // 000000004498: 680A0B21
	s_mul_i32 s60, 16, s70                                     // 00000000449C: 923C4690
	s_mul_i32 s60, s46, s60                                    // 0000000044A0: 923C3C2E
	v_lshlrev_b32_e32 v5, 2, v5                                // 0000000044A4: 240A0A82
	v_add_u32_e32 v5, s60, v5                                  // 0000000044A8: 680A0A3C
	s_mul_i32 s60, s52, s59                                    // 0000000044AC: 923C3B34
	v_add_u32_e32 v5, s60, v5                                  // 0000000044B0: 680A0A3C
	v_lshrrev_b32_e32 v5, 2, v5                                // 0000000044B4: 200A0A82
	s_mov_b32 s70, s53                                         // 0000000044B8: BEC60035
	v_lshrrev_b32_e32 v32, 3, v0                               // 0000000044BC: 20400083
	v_mul_i32_i24_e32 v10, s70, v32                            // 0000000044C0: 0C144046
	v_lshrrev_b32_e32 v10, 2, v10                              // 0000000044C4: 20141482
	v_and_b32_e32 v32, 7, v0                                   // 0000000044C8: 26400087
	v_lshlrev_b32_e32 v33, 2, v32                              // 0000000044CC: 24424082
	v_add_u32_e32 v10, v33, v10                                // 0000000044D0: 68141521
	s_mul_i32 s60, 16, s70                                     // 0000000044D4: 923C4690
	s_mul_i32 s60, s46, s60                                    // 0000000044D8: 923C3C2E
	v_lshlrev_b32_e32 v10, 2, v10                              // 0000000044DC: 24141482
	v_add_u32_e32 v10, s60, v10                                // 0000000044E0: 6814143C
	s_mul_i32 s60, s53, s59                                    // 0000000044E4: 923C3B35
	v_add_u32_e32 v10, s60, v10                                // 0000000044E8: 6814143C
	v_lshrrev_b32_e32 v10, 2, v10                              // 0000000044EC: 20141482
	s_cmp_ge_i32 s59, s85                                      // 0000000044F0: BF03553B
	s_cselect_b32 s59, s85, s59                                // 0000000044F4: 853B3B55
	s_add_u32 s73, 32, s59                                     // 0000000044F8: 80493BA0
	s_mul_i32 s55, s5, s59                                     // 0000000044FC: 92373B05
	s_sub_i32 s61, s85, s59                                    // 000000004500: 81BD3B55
	s_mul_i32 s62, s5, s61                                     // 000000004504: 923E3D05
	s_lshr_b32 s62, s62, 2                                     // 000000004508: 8F3E823E
	s_mov_b32 s10, s62                                         // 00000000450C: BE8A003E
	s_add_u32 s8, s55, s90                                     // 000000004510: 80085A37
	s_addc_u32 s9, 0, s91                                      // 000000004514: 82095B80
	s_mul_i32 s56, s51, s59                                    // 000000004518: 92383B33
	s_mul_i32 s62, s51, s61                                    // 00000000451C: 923E3D33
	s_lshr_b32 s62, s62, 2                                     // 000000004520: 8F3E823E
	s_mov_b32 s22, s62                                         // 000000004524: BE96003E
	s_add_u32 s20, s56, s98                                    // 000000004528: 80146238
	s_addc_u32 s21, 0, s99                                     // 00000000452C: 82156380
	s_mul_i32 s65, s59, 4                                      // 000000004530: 9241843B
	v_and_b32_e32 v11, 31, v0                                  // 000000004534: 2616009F
	v_lshlrev_b32_e32 v11, 2, v11                              // 000000004538: 24161682
	v_add_u32_e32 v11, s65, v11                                // 00000000453C: 68161641
	v_lshrrev_b32_e32 v11, 2, v11                              // 000000004540: 20161682
	v_lshrrev_b32_e32 v32, 5, v0                               // 000000004544: 20400085
	v_mul_i32_i24_e32 v6, 0x80, v32                            // 000000004548: 0C0C40FF 00000080
	v_and_b32_e32 v32, 31, v0                                  // 000000004550: 2640009F
	v_add_u32_e32 v6, v32, v6                                  // 000000004554: 680C0D20
	s_mul_i32 s60, s46, 0x100                                  // 000000004558: 923CFF2E 00000100
	v_add_u32_e32 v6, s60, v6                                  // 000000004560: 680C0C3C
	v_lshlrev_b32_e32 v6, 2, v6                                // 000000004564: 240C0C82
	v_add_u32_e32 v7, 0x100, v6                                // 000000004568: 680E0CFF 00000100
	v_add_u32_e32 v8, 0x1000, v6                               // 000000004570: 68100CFF 00001000
	v_add_u32_e32 v9, 0x1000, v7                               // 000000004578: 68120EFF 00001000
	s_mul_i32 s60, 64, s65                                     // 000000004580: 923C41C0
	v_add_u32_e32 v6, s60, v6                                  // 000000004584: 680C0C3C
	v_lshrrev_b32_e32 v6, 2, v6                                // 000000004588: 200C0C82
	v_add_u32_e32 v7, s60, v7                                  // 00000000458C: 680E0E3C
	v_lshrrev_b32_e32 v7, 2, v7                                // 000000004590: 200E0E82
	v_add_u32_e32 v8, s60, v8                                  // 000000004594: 6810103C
	v_lshrrev_b32_e32 v8, 2, v8                                // 000000004598: 20101082
	v_add_u32_e32 v9, s60, v9                                  // 00000000459C: 6812123C
	v_lshrrev_b32_e32 v9, 2, v9                                // 0000000045A0: 20121282
	s_mul_i32 s60, 3, s2                                       // 0000000045A4: 923C0283
	s_add_u32 s61, s87, 63                                     // 0000000045A8: 803DBF57
	s_lshr_b32 s61, s61, 6                                     // 0000000045AC: 8F3D863D
	s_sub_i32 s72, s61, s60                                    // 0000000045B0: 81C83C3D
	s_cmp_lt_i32 s72, 3                                        // 0000000045B4: BF048348
	s_cselect_b32 s72, s72, 3                                  // 0000000045B8: 85488348
	s_mul_i32 s60, 0xc0, s2                                    // 0000000045BC: 923C02FF 000000C0
	s_sub_i32 s84, s87, s60                                    // 0000000045C4: 81D43C57
	v_and_b32_e32 v32, 31, v0                                  // 0000000045C8: 2640009F
	v_lshrrev_b32_e32 v32, 1, v32                              // 0000000045CC: 20404081
	v_and_b32_e32 v33, 1, v32                                  // 0000000045D0: 26424081
	v_lshlrev_b32_e32 v33, 4, v33                              // 0000000045D4: 24424284
	v_and_b32_e32 v34, 2, v32                                  // 0000000045D8: 26444082
	v_lshlrev_b32_e32 v34, 2, v34                              // 0000000045DC: 24444482
	v_add_u32_e32 v33, v34, v33                                // 0000000045E0: 68424322
	v_and_b32_e32 v34, 12, v32                                 // 0000000045E4: 2644408C
	v_lshrrev_b32_e32 v34, 1, v34                              // 0000000045E8: 20444481
	v_add_u32_e32 v33, v34, v33                                // 0000000045EC: 68424322
	v_lshrrev_b32_e32 v32, 5, v0                               // 0000000045F0: 20400085
	v_mul_i32_i24_e32 v34, 0x80, v32                           // 0000000045F4: 0C4440FF 00000080
	v_add_u32_e32 v33, v34, v33                                // 0000000045FC: 68424322
	v_and_b32_e32 v34, 1, v0                                   // 000000004600: 26440081
	v_add_u32_e32 v13, v34, v33                                // 000000004604: 681A4322
	s_mul_i32 s60, s46, 32                                     // 000000004608: 923CA02E
	v_add_u32_e32 v13, s60, v13                                // 00000000460C: 681A1A3C
	v_lshlrev_b32_e32 v13, 2, v13                              // 000000004610: 241A1A82
	v_lshrrev_b32_e32 v32, 4, v0                               // 000000004614: 20400084
	v_and_b32_e32 v33, 1, v32                                  // 000000004618: 26424081
	v_lshlrev_b32_e32 v33, 4, v33                              // 00000000461C: 24424284
	v_and_b32_e32 v34, 2, v32                                  // 000000004620: 26444082
	v_mul_i32_i24_e32 v34, 4, v34                              // 000000004624: 0C444484
	v_add_u32_e32 v33, v34, v33                                // 000000004628: 68424322
	v_and_b32_e32 v32, 15, v0                                  // 00000000462C: 2640008F
	v_lshrrev_b32_e32 v34, 2, v32                              // 000000004630: 20444082
	v_lshlrev_b32_e32 v34, 5, v34                              // 000000004634: 24444485
	v_add_u32_e32 v33, v34, v33                                // 000000004638: 68424322
	v_and_b32_e32 v32, 3, v0                                   // 00000000463C: 26400083
	v_and_b32_e32 v34, 1, v32                                  // 000000004640: 26444081
	v_mul_i32_i24_e32 v34, 0x108, v34                          // 000000004644: 0C4444FF 00000108
	v_add_u32_e32 v33, v34, v33                                // 00000000464C: 68424322
	v_and_b32_e32 v34, 2, v32                                  // 000000004650: 26444082
	v_lshlrev_b32_e32 v34, 1, v34                              // 000000004654: 24444481
	v_add_u32_e32 v12, v34, v33                                // 000000004658: 68184322
	v_lshlrev_b32_e32 v12, 2, v12                              // 00000000465C: 24181882
	s_mul_i32 s60, s46, 0x880                                  // 000000004660: 923CFF2E 00000880
	v_add_u32_e32 v24, s60, v12                                // 000000004668: 6830183C
	v_lshrrev_b32_e32 v32, 5, v0                               // 00000000466C: 20400085
	v_mul_i32_i24_e32 v15, 0x80, v32                           // 000000004670: 0C1E40FF 00000080
	v_and_b32_e32 v32, 31, v0                                  // 000000004678: 2640009F
	v_and_b32_e32 v33, 7, v32                                  // 00000000467C: 26424087
	v_and_b32_e32 v34, 1, v33                                  // 000000004680: 26444281
	v_lshlrev_b32_e32 v34, 2, v34                              // 000000004684: 24444482
	v_add_u32_e32 v15, v34, v15                                // 000000004688: 681E1F22
	v_and_b32_e32 v34, 2, v33                                  // 00000000468C: 26444282
	v_lshlrev_b32_e32 v34, 3, v34                              // 000000004690: 24444483
	v_add_u32_e32 v15, v34, v15                                // 000000004694: 681E1F22
	v_and_b32_e32 v34, 4, v33                                  // 000000004698: 26444284
	v_lshlrev_b32_e32 v34, 1, v34                              // 00000000469C: 24444481
	v_add_u32_e32 v15, v34, v15                                // 0000000046A0: 681E1F22
	v_lshrrev_b32_e32 v33, 3, v32                              // 0000000046A4: 20424083
	v_and_b32_e32 v34, 1, v33                                  // 0000000046A8: 26444281
	v_lshlrev_b32_e32 v34, 1, v34                              // 0000000046AC: 24444481
	v_add_u32_e32 v15, v34, v15                                // 0000000046B0: 681E1F22
	v_and_b32_e32 v34, 2, v33                                  // 0000000046B4: 26444282
	v_lshrrev_b32_e32 v34, 1, v34                              // 0000000046B8: 20444481
	v_add_u32_e32 v15, v34, v15                                // 0000000046BC: 681E1F22
	s_mul_i32 s60, s46, 32                                     // 0000000046C0: 923CA02E
	v_add_u32_e32 v15, s60, v15                                // 0000000046C4: 681E1E3C
	v_lshlrev_b32_e32 v15, 2, v15                              // 0000000046C8: 241E1E82
	v_and_b32_e32 v32, 15, v0                                  // 0000000046CC: 2640008F
	v_and_b32_e32 v34, 1, v32                                  // 0000000046D0: 26444081
	v_mul_i32_i24_e32 v14, 0x108, v34                          // 0000000046D4: 0C1C44FF 00000108
	v_and_b32_e32 v34, 2, v32                                  // 0000000046DC: 26444082
	v_lshlrev_b32_e32 v34, 1, v34                              // 0000000046E0: 24444481
	v_add_u32_e32 v14, v34, v14                                // 0000000046E4: 681C1D22
	v_and_b32_e32 v34, 4, v32                                  // 0000000046E8: 26444084
	v_lshlrev_b32_e32 v34, 2, v34                              // 0000000046EC: 24444482
	v_add_u32_e32 v14, v34, v14                                // 0000000046F0: 681C1D22
	v_and_b32_e32 v34, 8, v32                                  // 0000000046F4: 26444088
	v_add_u32_e32 v14, v34, v14                                // 0000000046F8: 681C1D22
	v_lshrrev_b32_e32 v32, 4, v0                               // 0000000046FC: 20400084
	v_and_b32_e32 v34, 1, v32                                  // 000000004700: 26444081
	v_lshlrev_b32_e32 v34, 5, v34                              // 000000004704: 24444485
	v_add_u32_e32 v14, v34, v14                                // 000000004708: 681C1D22
	v_and_b32_e32 v33, 2, v32                                  // 00000000470C: 26424082
	v_mul_i32_i24_e32 v34, 32, v33                             // 000000004710: 0C4442A0
	v_mul_i32_i24_e32 v33, 0x110, v33                          // 000000004714: 0C4242FF 00000110
	v_add_u32_e32 v25, v33, v14                                // 00000000471C: 68321D21
	v_add_u32_e32 v14, v34, v14                                // 000000004720: 681C1D22
	v_lshlrev_b32_e32 v14, 2, v14                              // 000000004724: 241C1C82
	v_lshlrev_b32_e32 v25, 2, v25                              // 000000004728: 24323282
	s_and_b32 s60, 1, s46                                      // 00000000472C: 863C2E81
	s_mul_i32 s60, s60, 0x200                                  // 000000004730: 923CFF3C 00000200
	v_add_u32_e32 v25, s60, v25                                // 000000004738: 6832323C
	v_lshrrev_b32_e32 v32, 4, v0                               // 00000000473C: 20400084
	v_mul_i32_i24_e32 v23, 4, v32                              // 000000004740: 0C2E4084
	v_and_b32_e32 v33, 3, v0                                   // 000000004744: 26420083
	v_add_u32_e32 v23, v33, v23                                // 000000004748: 682E2F21
	v_lshlrev_b32_e32 v23, 2, v23                              // 00000000474C: 242E2E82
	v_lshrrev_b32_e32 v32, 4, v0                               // 000000004750: 20400084
	v_and_b32_e32 v33, 1, v32                                  // 000000004754: 26424081
	v_mul_i32_i24_e32 v21, 0x100, v33                          // 000000004758: 0C2A42FF 00000100
	v_and_b32_e32 v33, 2, v32                                  // 000000004760: 26424082
	v_mul_i32_i24_e32 v33, 64, v33                             // 000000004764: 0C4242C0
	v_add_u32_e32 v21, v33, v21                                // 000000004768: 682A2B21
	v_and_b32_e32 v32, 15, v0                                  // 00000000476C: 2640008F
	v_mul_i32_i24_e32 v33, 2, v32                              // 000000004770: 0C424082
	v_add_u32_e32 v21, v33, v21                                // 000000004774: 682A2B21
	s_mul_i32 s60, s46, 32                                     // 000000004778: 923CA02E
	v_add_u32_e32 v21, s60, v21                                // 00000000477C: 682A2A3C
	v_lshlrev_b32_e32 v21, 2, v21                              // 000000004780: 242A2A82
	v_lshlrev_b32_e32 v22, 1, v0                               // 000000004784: 242C0081
	s_mul_i32 s60, s46, 0x200                                  // 000000004788: 923CFF2E 00000200
	v_add_u32_e32 v22, s60, v22                                // 000000004790: 682C2C3C
	v_lshlrev_b32_e32 v22, 2, v22                              // 000000004794: 242C2C82
	v_lshrrev_b32_e32 v32, 5, v0                               // 000000004798: 20400085
	v_mul_i32_i24_e32 v19, 64, v32                             // 00000000479C: 0C2640C0
	v_and_b32_e32 v32, 31, v0                                  // 0000000047A0: 2640009F
	v_and_b32_e32 v32, 3, v32                                  // 0000000047A4: 26404083
	v_and_b32_e32 v33, 1, v32                                  // 0000000047A8: 26424081
	v_mul_i32_i24_e32 v33, 4, v33                              // 0000000047AC: 0C424284
	v_add_u32_e32 v19, v33, v19                                // 0000000047B0: 68262721
	v_and_b32_e32 v33, 2, v32                                  // 0000000047B4: 26424082
	v_mul_i32_i24_e32 v33, 0x44, v33                           // 0000000047B8: 0C4242FF 00000044
	v_add_u32_e32 v19, v33, v19                                // 0000000047C0: 68262721
	v_and_b32_e32 v32, 31, v0                                  // 0000000047C4: 2640009F
	v_lshrrev_b32_e32 v32, 2, v32                              // 0000000047C8: 20404082
	v_lshrrev_b32_e32 v34, 2, v32                              // 0000000047CC: 20444082
	v_mul_i32_i24_e32 v33, 16, v34                             // 0000000047D0: 0C424490
	v_add_u32_e32 v19, v33, v19                                // 0000000047D4: 68262721
	v_and_b32_e32 v33, 2, v32                                  // 0000000047D8: 26424082
	v_lshlrev_b32_e32 v33, 4, v33                              // 0000000047DC: 24424284
	v_add_u32_e32 v19, v33, v19                                // 0000000047E0: 68262721
	v_and_b32_e32 v33, 1, v32                                  // 0000000047E4: 26424081
	v_xor_b32_e32 v33, v34, v33                                // 0000000047E8: 2A424322
	v_mul_i32_i24_e32 v33, 8, v33                              // 0000000047EC: 0C424288
	v_add_u32_e32 v19, v33, v19                                // 0000000047F0: 68262721
	s_lshr_b32 s60, s46, 1                                     // 0000000047F4: 8F3C812E
	s_mul_i32 s60, s60, 0x6c0                                  // 0000000047F8: 923CFF3C 000006C0
	v_add_u32_e32 v19, s60, v19                                // 000000004800: 6826263C
	v_lshlrev_b32_e32 v19, 2, v19                              // 000000004804: 24262682
	v_lshrrev_b32_e32 v32, 5, v0                               // 000000004808: 20400085
	v_mul_i32_i24_e32 v20, 32, v32                             // 00000000480C: 0C2840A0
	v_and_b32_e32 v32, 31, v0                                  // 000000004810: 2640009F
	v_and_b32_e32 v32, 3, v32                                  // 000000004814: 26404083
	v_and_b32_e32 v33, 1, v32                                  // 000000004818: 26424081
	v_mul_i32_i24_e32 v33, 4, v33                              // 00000000481C: 0C424284
	v_add_u32_e32 v20, v33, v20                                // 000000004820: 68282921
	v_and_b32_e32 v33, 2, v32                                  // 000000004824: 26424082
	v_lshrrev_b32_e32 v33, 1, v33                              // 000000004828: 20424281
	v_add_u32_e32 v20, v33, v20                                // 00000000482C: 68282921
	v_and_b32_e32 v32, 31, v0                                  // 000000004830: 2640009F
	v_lshrrev_b32_e32 v32, 2, v32                              // 000000004834: 20404082
	v_and_b32_e32 v34, 1, v32                                  // 000000004838: 26444081
	v_mul_i32_i24_e32 v33, 16, v34                             // 00000000483C: 0C424490
	v_add_u32_e32 v20, v33, v20                                // 000000004840: 68282921
	v_and_b32_e32 v33, 2, v32                                  // 000000004844: 26424082
	v_add_u32_e32 v20, v33, v20                                // 000000004848: 68282921
	v_lshrrev_b32_e32 v33, 2, v32                              // 00000000484C: 20424082
	v_xor_b32_e32 v33, v34, v33                                // 000000004850: 2A424322
	v_mul_i32_i24_e32 v33, 8, v33                              // 000000004854: 0C424288
	v_add_u32_e32 v20, v33, v20                                // 000000004858: 68282921
	s_and_b32 s60, 1, s46                                      // 00000000485C: 863C2E81
	s_mul_i32 s60, s60, 64                                     // 000000004860: 923CC03C
	s_lshr_b32 s61, s46, 1                                     // 000000004864: 8F3D812E
	s_mul_i32 s61, s61, 0x120                                  // 000000004868: 923DFF3D 00000120
	s_add_u32 s60, s60, s61                                    // 000000004870: 803C3D3C
	v_add_u32_e32 v20, s60, v20                                // 000000004874: 6828283C
	v_lshlrev_b32_e32 v20, 2, v20                              // 000000004878: 24282882
	buffer_load_dword v180, v1, s[12:15], 0 idxen              // 00000000487C: E0502000 8003B401
	buffer_load_dword v181, v2, s[12:15], 0 idxen              // 000000004884: E0502000 8003B502
	s_mul_i32 s60, 4, s6                                       // 00000000488C: 923C0684
	s_cmp_lt_i32 0, s72                                        // 000000004890: BF044880
	s_cselect_b32 s60, s60, 0                                  // 000000004894: 853C803C
	v_add_u32_e32 v1, s60, v1                                  // 000000004898: 6802023C
	v_add_u32_e32 v2, s60, v2                                  // 00000000489C: 6804043C
	buffer_load_dword v182, v1, s[12:15], 0 idxen              // 0000000048A0: E0502000 8003B601
	buffer_load_dword v183, v2, s[12:15], 0 idxen              // 0000000048A8: E0502000 8003B702
	s_mul_i32 s60, 4, s6                                       // 0000000048B0: 923C0684
	s_cmp_lt_i32 0, s72                                        // 0000000048B4: BF044880
	s_cselect_b32 s60, s60, 0                                  // 0000000048B8: 853C803C
	v_add_u32_e32 v1, s60, v1                                  // 0000000048BC: 6802023C
	v_add_u32_e32 v2, s60, v2                                  // 0000000048C0: 6804043C
	buffer_load_dword v184, v1, s[12:15], 0 idxen              // 0000000048C4: E0502000 8003B801
	buffer_load_dword v185, v2, s[12:15], 0 idxen              // 0000000048CC: E0502000 8003B902
	s_mul_i32 s60, 4, s6                                       // 0000000048D4: 923C0684
	s_cmp_lt_i32 0, s72                                        // 0000000048D8: BF044880
	s_cselect_b32 s60, s60, 0                                  // 0000000048DC: 853C803C
	v_add_u32_e32 v1, s60, v1                                  // 0000000048E0: 6802023C
	v_add_u32_e32 v2, s60, v2                                  // 0000000048E4: 6804043C
	buffer_load_dword v186, v1, s[12:15], 0 idxen              // 0000000048E8: E0502000 8003BA01
	buffer_load_dword v187, v2, s[12:15], 0 idxen              // 0000000048F0: E0502000 8003BB02
	s_mul_i32 s60, 4, s6                                       // 0000000048F8: 923C0684
	s_cmp_lt_i32 1, s72                                        // 0000000048FC: BF044881
	s_cselect_b32 s60, s60, 0                                  // 000000004900: 853C803C
	v_add_u32_e32 v1, s60, v1                                  // 000000004904: 6802023C
	v_add_u32_e32 v2, s60, v2                                  // 000000004908: 6804043C
	buffer_load_dword v188, v1, s[12:15], 0 idxen              // 00000000490C: E0502000 8003BC01
	buffer_load_dword v189, v2, s[12:15], 0 idxen              // 000000004914: E0502000 8003BD02
	s_mul_i32 s60, 4, s6                                       // 00000000491C: 923C0684
	s_cmp_lt_i32 1, s72                                        // 000000004920: BF044881
	s_cselect_b32 s60, s60, 0                                  // 000000004924: 853C803C
	v_add_u32_e32 v1, s60, v1                                  // 000000004928: 6802023C
	v_add_u32_e32 v2, s60, v2                                  // 00000000492C: 6804043C
	buffer_load_dword v190, v1, s[12:15], 0 idxen              // 000000004930: E0502000 8003BE01
	buffer_load_dword v191, v2, s[12:15], 0 idxen              // 000000004938: E0502000 8003BF02
	s_mul_i32 s60, 4, s6                                       // 000000004940: 923C0684
	s_cmp_lt_i32 1, s72                                        // 000000004944: BF044881
	s_cselect_b32 s60, s60, 0                                  // 000000004948: 853C803C
	v_add_u32_e32 v1, s60, v1                                  // 00000000494C: 6802023C
	v_add_u32_e32 v2, s60, v2                                  // 000000004950: 6804043C
	buffer_load_dword v192, v1, s[12:15], 0 idxen              // 000000004954: E0502000 8003C001
	buffer_load_dword v193, v2, s[12:15], 0 idxen              // 00000000495C: E0502000 8003C102
	s_mul_i32 s60, 4, s6                                       // 000000004964: 923C0684
	s_cmp_lt_i32 1, s72                                        // 000000004968: BF044881
	s_cselect_b32 s60, s60, 0                                  // 00000000496C: 853C803C
	v_add_u32_e32 v1, s60, v1                                  // 000000004970: 6802023C
	v_add_u32_e32 v2, s60, v2                                  // 000000004974: 6804043C
	buffer_load_dword v194, v1, s[12:15], 0 idxen              // 000000004978: E0502000 8003C201
	buffer_load_dword v195, v2, s[12:15], 0 idxen              // 000000004980: E0502000 8003C302
	s_mul_i32 s60, 4, s6                                       // 000000004988: 923C0684
	s_cmp_lt_i32 2, s72                                        // 00000000498C: BF044882
	s_cselect_b32 s60, s60, 0                                  // 000000004990: 853C803C
	v_add_u32_e32 v1, s60, v1                                  // 000000004994: 6802023C
	v_add_u32_e32 v2, s60, v2                                  // 000000004998: 6804043C
	buffer_load_dword v196, v1, s[12:15], 0 idxen              // 00000000499C: E0502000 8003C401
	buffer_load_dword v197, v2, s[12:15], 0 idxen              // 0000000049A4: E0502000 8003C502
	s_mul_i32 s60, 4, s6                                       // 0000000049AC: 923C0684
	s_cmp_lt_i32 2, s72                                        // 0000000049B0: BF044882
	s_cselect_b32 s60, s60, 0                                  // 0000000049B4: 853C803C
	v_add_u32_e32 v1, s60, v1                                  // 0000000049B8: 6802023C
	v_add_u32_e32 v2, s60, v2                                  // 0000000049BC: 6804043C
	buffer_load_dword v198, v1, s[12:15], 0 idxen              // 0000000049C0: E0502000 8003C601
	buffer_load_dword v199, v2, s[12:15], 0 idxen              // 0000000049C8: E0502000 8003C702
	s_mul_i32 s60, 4, s6                                       // 0000000049D0: 923C0684
	s_cmp_lt_i32 2, s72                                        // 0000000049D4: BF044882
	s_cselect_b32 s60, s60, 0                                  // 0000000049D8: 853C803C
	v_add_u32_e32 v1, s60, v1                                  // 0000000049DC: 6802023C
	v_add_u32_e32 v2, s60, v2                                  // 0000000049E0: 6804043C
	buffer_load_dword v200, v1, s[12:15], 0 idxen              // 0000000049E4: E0502000 8003C801
	buffer_load_dword v201, v2, s[12:15], 0 idxen              // 0000000049EC: E0502000 8003C902
	s_mul_i32 s60, 4, s6                                       // 0000000049F4: 923C0684
	s_cmp_lt_i32 2, s72                                        // 0000000049F8: BF044882
	s_cselect_b32 s60, s60, 0                                  // 0000000049FC: 853C803C
	v_add_u32_e32 v1, s60, v1                                  // 000000004A00: 6802023C
	v_add_u32_e32 v2, s60, v2                                  // 000000004A04: 6804043C
	buffer_load_dword v202, v1, s[12:15], 0 idxen              // 000000004A08: E0502000 8003CA01
	buffer_load_dword v203, v2, s[12:15], 0 idxen              // 000000004A10: E0502000 8003CB02
	s_mul_i32 s60, 4, s6                                       // 000000004A18: 923C0684
	s_cmp_lt_i32 3, s72                                        // 000000004A1C: BF044883
	s_cselect_b32 s60, s60, 0                                  // 000000004A20: 853C803C
	v_add_u32_e32 v1, s60, v1                                  // 000000004A24: 6802023C
	v_add_u32_e32 v2, s60, v2                                  // 000000004A28: 6804043C
	s_waitcnt vmcnt(16) lgkmcnt(0)                             // 000000004A2C: BF8C4070
	s_barrier                                                  // 000000004A30: BF8A0000
	s_cmp_lt_i32 0, s72                                        // 000000004A34: BF044880
	s_cbranch_scc1 label_0317                                  // 000000004A38: BF850008
	v_mov_b32_e32 v180, 0                                      // 000000004A3C: 7F680280
	v_mov_b32_e32 v181, 0                                      // 000000004A40: 7F6A0280
	v_mov_b32_e32 v182, 0                                      // 000000004A44: 7F6C0280
	v_mov_b32_e32 v183, 0                                      // 000000004A48: 7F6E0280
	v_mov_b32_e32 v184, 0                                      // 000000004A4C: 7F700280
	v_mov_b32_e32 v185, 0                                      // 000000004A50: 7F720280
	v_mov_b32_e32 v186, 0                                      // 000000004A54: 7F740280
	v_mov_b32_e32 v187, 0                                      // 000000004A58: 7F760280

0000000000004a5c <label_0317>:
	v_perm_b32 v204, v181, v180, s63                           // 000000004A5C: D1ED00CC 00FF69B5
	v_perm_b32 v205, v181, v180, s64                           // 000000004A64: D1ED00CD 010369B5
	v_perm_b32 v206, v183, v182, s63                           // 000000004A6C: D1ED00CE 00FF6DB7
	v_perm_b32 v207, v183, v182, s64                           // 000000004A74: D1ED00CF 01036DB7
	v_perm_b32 v208, v185, v184, s63                           // 000000004A7C: D1ED00D0 00FF71B9
	v_perm_b32 v209, v185, v184, s64                           // 000000004A84: D1ED00D1 010371B9
	v_perm_b32 v210, v187, v186, s63                           // 000000004A8C: D1ED00D2 00FF75BB
	v_perm_b32 v211, v187, v186, s64                           // 000000004A94: D1ED00D3 010375BB
	ds_write_b32 v15, v204 offset:8704                         // 000000004A9C: D81A2200 0000CC0F
	ds_write_b32 v15, v205 offset:9760                         // 000000004AA4: D81A2620 0000CD0F
	ds_write_b32 v15, v206 offset:10880                        // 000000004AAC: D81A2A80 0000CE0F
	ds_write_b32 v15, v207 offset:11936                        // 000000004AB4: D81A2EA0 0000CF0F
	ds_write_b32 v15, v208 offset:13056                        // 000000004ABC: D81A3300 0000D00F
	ds_write_b32 v15, v209 offset:14112                        // 000000004AC4: D81A3720 0000D10F
	ds_write_b32 v15, v210 offset:15232                        // 000000004ACC: D81A3B80 0000D20F
	ds_write_b32 v15, v211 offset:16288                        // 000000004AD4: D81A3FA0 0000D30F
	ds_write_b32 v13, v180                                     // 000000004ADC: D81A0000 0000B40D
	ds_write_b32 v13, v181 offset:1056                         // 000000004AE4: D81A0420 0000B50D
	ds_write_b32 v13, v182 offset:2176                         // 000000004AEC: D81A0880 0000B60D
	ds_write_b32 v13, v183 offset:3232                         // 000000004AF4: D81A0CA0 0000B70D
	ds_write_b32 v13, v184 offset:4352                         // 000000004AFC: D81A1100 0000B80D
	ds_write_b32 v13, v185 offset:5408                         // 000000004B04: D81A1520 0000B90D
	ds_write_b32 v13, v186 offset:6528                         // 000000004B0C: D81A1980 0000BA0D
	ds_write_b32 v13, v187 offset:7584                         // 000000004B14: D81A1DA0 0000BB0D
	buffer_load_dword v180, v232, s[16:19], 0 idxen            // 000000004B1C: E0502000 8004B4E8
	buffer_load_dword v181, v233, s[16:19], 0 idxen            // 000000004B24: E0502000 8004B5E9
	s_mul_i32 s60, 4, s7                                       // 000000004B2C: 923C0784
	s_cmp_lt_i32 0, s72                                        // 000000004B30: BF044880
	s_cselect_b32 s60, s60, 0                                  // 000000004B34: 853C803C
	v_add_u32_e32 v232, s60, v232                              // 000000004B38: 69D1D03C
	v_add_u32_e32 v233, s60, v233                              // 000000004B3C: 69D3D23C
	buffer_load_dword v182, v232, s[16:19], 0 idxen            // 000000004B40: E0502000 8004B6E8
	buffer_load_dword v183, v233, s[16:19], 0 idxen            // 000000004B48: E0502000 8004B7E9
	s_mul_i32 s60, 4, s7                                       // 000000004B50: 923C0784
	s_cmp_lt_i32 0, s72                                        // 000000004B54: BF044880
	s_cselect_b32 s60, s60, 0                                  // 000000004B58: 853C803C
	v_add_u32_e32 v232, s60, v232                              // 000000004B5C: 69D1D03C
	v_add_u32_e32 v233, s60, v233                              // 000000004B60: 69D3D23C
	buffer_load_dword v184, v232, s[16:19], 0 idxen            // 000000004B64: E0502000 8004B8E8
	buffer_load_dword v185, v233, s[16:19], 0 idxen            // 000000004B6C: E0502000 8004B9E9
	s_mul_i32 s60, 4, s7                                       // 000000004B74: 923C0784
	s_cmp_lt_i32 0, s72                                        // 000000004B78: BF044880
	s_cselect_b32 s60, s60, 0                                  // 000000004B7C: 853C803C
	v_add_u32_e32 v232, s60, v232                              // 000000004B80: 69D1D03C
	v_add_u32_e32 v233, s60, v233                              // 000000004B84: 69D3D23C
	buffer_load_dword v186, v232, s[16:19], 0 idxen            // 000000004B88: E0502000 8004BAE8
	buffer_load_dword v187, v233, s[16:19], 0 idxen            // 000000004B90: E0502000 8004BBE9
	s_mul_i32 s60, 4, s7                                       // 000000004B98: 923C0784
	s_cmp_lt_i32 1, s72                                        // 000000004B9C: BF044881
	s_cselect_b32 s60, s60, 0                                  // 000000004BA0: 853C803C
	v_add_u32_e32 v232, s60, v232                              // 000000004BA4: 69D1D03C
	v_add_u32_e32 v233, s60, v233                              // 000000004BA8: 69D3D23C
	s_waitcnt lgkmcnt(0)                                       // 000000004BAC: BF8CC07F
	s_barrier                                                  // 000000004BB0: BF8A0000
	ds_read_b128 a[24:27], v25 offset:8704                     // 000000004BB4: DBFE2200 18000019
	ds_read_b128 a[28:31], v25 offset:8960                     // 000000004BBC: DBFE2300 1C000019
	ds_read_b128 a[32:35], v25 offset:13056                    // 000000004BC4: DBFE3300 20000019
	ds_read_b128 a[36:39], v25 offset:13312                    // 000000004BCC: DBFE3400 24000019
	ds_read_b128 a[0:3], v24                                   // 000000004BD4: DBFE0000 00000018
	ds_read_b128 a[4:7], v24 offset:512                        // 000000004BDC: DBFE0200 04000018
	s_waitcnt vmcnt(16) lgkmcnt(0)                             // 000000004BE4: BF8C4070
	s_barrier                                                  // 000000004BE8: BF8A0000
	s_cmp_lt_i32 1, s72                                        // 000000004BEC: BF044881
	s_cbranch_scc1 label_0385                                  // 000000004BF0: BF850008
	v_mov_b32_e32 v188, 0                                      // 000000004BF4: 7F780280
	v_mov_b32_e32 v189, 0                                      // 000000004BF8: 7F7A0280
	v_mov_b32_e32 v190, 0                                      // 000000004BFC: 7F7C0280
	v_mov_b32_e32 v191, 0                                      // 000000004C00: 7F7E0280
	v_mov_b32_e32 v192, 0                                      // 000000004C04: 7F800280
	v_mov_b32_e32 v193, 0                                      // 000000004C08: 7F820280
	v_mov_b32_e32 v194, 0                                      // 000000004C0C: 7F840280
	v_mov_b32_e32 v195, 0                                      // 000000004C10: 7F860280

0000000000004c14 <label_0385>:
	v_perm_b32 v204, v189, v188, s63                           // 000000004C14: D1ED00CC 00FF79BD
	v_perm_b32 v205, v189, v188, s64                           // 000000004C1C: D1ED00CD 010379BD
	v_perm_b32 v206, v191, v190, s63                           // 000000004C24: D1ED00CE 00FF7DBF
	v_perm_b32 v207, v191, v190, s64                           // 000000004C2C: D1ED00CF 01037DBF
	v_perm_b32 v208, v193, v192, s63                           // 000000004C34: D1ED00D0 00FF81C1
	v_perm_b32 v209, v193, v192, s64                           // 000000004C3C: D1ED00D1 010381C1
	v_perm_b32 v210, v195, v194, s63                           // 000000004C44: D1ED00D2 00FF85C3
	v_perm_b32 v211, v195, v194, s64                           // 000000004C4C: D1ED00D3 010385C3
	ds_write_b32 v15, v204 offset:8704                         // 000000004C54: D81A2200 0000CC0F
	ds_write_b32 v15, v205 offset:9760                         // 000000004C5C: D81A2620 0000CD0F
	ds_write_b32 v15, v206 offset:10880                        // 000000004C64: D81A2A80 0000CE0F
	ds_write_b32 v15, v207 offset:11936                        // 000000004C6C: D81A2EA0 0000CF0F
	ds_write_b32 v15, v208 offset:13056                        // 000000004C74: D81A3300 0000D00F
	ds_write_b32 v15, v209 offset:14112                        // 000000004C7C: D81A3720 0000D10F
	ds_write_b32 v15, v210 offset:15232                        // 000000004C84: D81A3B80 0000D20F
	ds_write_b32 v15, v211 offset:16288                        // 000000004C8C: D81A3FA0 0000D30F
	ds_write_b32 v13, v188                                     // 000000004C94: D81A0000 0000BC0D
	ds_write_b32 v13, v189 offset:1056                         // 000000004C9C: D81A0420 0000BD0D
	ds_write_b32 v13, v190 offset:2176                         // 000000004CA4: D81A0880 0000BE0D
	ds_write_b32 v13, v191 offset:3232                         // 000000004CAC: D81A0CA0 0000BF0D
	ds_write_b32 v13, v192 offset:4352                         // 000000004CB4: D81A1100 0000C00D
	ds_write_b32 v13, v193 offset:5408                         // 000000004CBC: D81A1520 0000C10D
	ds_write_b32 v13, v194 offset:6528                         // 000000004CC4: D81A1980 0000C20D
	ds_write_b32 v13, v195 offset:7584                         // 000000004CCC: D81A1DA0 0000C30D
	buffer_load_dword v188, v232, s[16:19], 0 idxen            // 000000004CD4: E0502000 8004BCE8
	buffer_load_dword v189, v233, s[16:19], 0 idxen            // 000000004CDC: E0502000 8004BDE9
	s_mul_i32 s60, 4, s7                                       // 000000004CE4: 923C0784
	s_cmp_lt_i32 1, s72                                        // 000000004CE8: BF044881
	s_cselect_b32 s60, s60, 0                                  // 000000004CEC: 853C803C
	v_add_u32_e32 v232, s60, v232                              // 000000004CF0: 69D1D03C
	v_add_u32_e32 v233, s60, v233                              // 000000004CF4: 69D3D23C
	buffer_load_dword v190, v232, s[16:19], 0 idxen            // 000000004CF8: E0502000 8004BEE8
	buffer_load_dword v191, v233, s[16:19], 0 idxen            // 000000004D00: E0502000 8004BFE9
	s_mul_i32 s60, 4, s7                                       // 000000004D08: 923C0784
	s_cmp_lt_i32 1, s72                                        // 000000004D0C: BF044881
	s_cselect_b32 s60, s60, 0                                  // 000000004D10: 853C803C
	v_add_u32_e32 v232, s60, v232                              // 000000004D14: 69D1D03C
	v_add_u32_e32 v233, s60, v233                              // 000000004D18: 69D3D23C
	buffer_load_dword v192, v232, s[16:19], 0 idxen            // 000000004D1C: E0502000 8004C0E8
	buffer_load_dword v193, v233, s[16:19], 0 idxen            // 000000004D24: E0502000 8004C1E9
	s_mul_i32 s60, 4, s7                                       // 000000004D2C: 923C0784
	s_cmp_lt_i32 1, s72                                        // 000000004D30: BF044881
	s_cselect_b32 s60, s60, 0                                  // 000000004D34: 853C803C
	v_add_u32_e32 v232, s60, v232                              // 000000004D38: 69D1D03C
	v_add_u32_e32 v233, s60, v233                              // 000000004D3C: 69D3D23C
	buffer_load_dword v194, v232, s[16:19], 0 idxen            // 000000004D40: E0502000 8004C2E8
	buffer_load_dword v195, v233, s[16:19], 0 idxen            // 000000004D48: E0502000 8004C3E9
	s_mul_i32 s60, 4, s7                                       // 000000004D50: 923C0784
	s_cmp_lt_i32 2, s72                                        // 000000004D54: BF044882
	s_cselect_b32 s60, s60, 0                                  // 000000004D58: 853C803C
	v_add_u32_e32 v232, s60, v232                              // 000000004D5C: 69D1D03C
	v_add_u32_e32 v233, s60, v233                              // 000000004D60: 69D3D23C
	s_waitcnt lgkmcnt(0)                                       // 000000004D64: BF8CC07F
	s_barrier                                                  // 000000004D68: BF8A0000
	ds_read_b128 a[40:43], v25 offset:8704                     // 000000004D6C: DBFE2200 28000019
	ds_read_b128 a[44:47], v25 offset:8960                     // 000000004D74: DBFE2300 2C000019
	ds_read_b128 a[48:51], v25 offset:13056                    // 000000004D7C: DBFE3300 30000019
	ds_read_b128 a[52:55], v25 offset:13312                    // 000000004D84: DBFE3400 34000019
	ds_read_b128 a[8:11], v24                                  // 000000004D8C: DBFE0000 08000018
	ds_read_b128 a[12:15], v24 offset:512                      // 000000004D94: DBFE0200 0C000018
	s_waitcnt vmcnt(16) lgkmcnt(0)                             // 000000004D9C: BF8C4070
	s_barrier                                                  // 000000004DA0: BF8A0000
	s_cmp_lt_i32 2, s72                                        // 000000004DA4: BF044882
	s_cbranch_scc1 label_03F3                                  // 000000004DA8: BF850008
	v_mov_b32_e32 v196, 0                                      // 000000004DAC: 7F880280
	v_mov_b32_e32 v197, 0                                      // 000000004DB0: 7F8A0280
	v_mov_b32_e32 v198, 0                                      // 000000004DB4: 7F8C0280
	v_mov_b32_e32 v199, 0                                      // 000000004DB8: 7F8E0280
	v_mov_b32_e32 v200, 0                                      // 000000004DBC: 7F900280
	v_mov_b32_e32 v201, 0                                      // 000000004DC0: 7F920280
	v_mov_b32_e32 v202, 0                                      // 000000004DC4: 7F940280
	v_mov_b32_e32 v203, 0                                      // 000000004DC8: 7F960280

0000000000004dcc <label_03F3>:
	v_perm_b32 v204, v197, v196, s63                           // 000000004DCC: D1ED00CC 00FF89C5
	v_perm_b32 v205, v197, v196, s64                           // 000000004DD4: D1ED00CD 010389C5
	v_perm_b32 v206, v199, v198, s63                           // 000000004DDC: D1ED00CE 00FF8DC7
	v_perm_b32 v207, v199, v198, s64                           // 000000004DE4: D1ED00CF 01038DC7
	v_perm_b32 v208, v201, v200, s63                           // 000000004DEC: D1ED00D0 00FF91C9
	v_perm_b32 v209, v201, v200, s64                           // 000000004DF4: D1ED00D1 010391C9
	v_perm_b32 v210, v203, v202, s63                           // 000000004DFC: D1ED00D2 00FF95CB
	v_perm_b32 v211, v203, v202, s64                           // 000000004E04: D1ED00D3 010395CB
	ds_write_b32 v15, v204 offset:8704                         // 000000004E0C: D81A2200 0000CC0F
	ds_write_b32 v15, v205 offset:9760                         // 000000004E14: D81A2620 0000CD0F
	ds_write_b32 v15, v206 offset:10880                        // 000000004E1C: D81A2A80 0000CE0F
	ds_write_b32 v15, v207 offset:11936                        // 000000004E24: D81A2EA0 0000CF0F
	ds_write_b32 v15, v208 offset:13056                        // 000000004E2C: D81A3300 0000D00F
	ds_write_b32 v15, v209 offset:14112                        // 000000004E34: D81A3720 0000D10F
	ds_write_b32 v15, v210 offset:15232                        // 000000004E3C: D81A3B80 0000D20F
	ds_write_b32 v15, v211 offset:16288                        // 000000004E44: D81A3FA0 0000D30F
	ds_write_b32 v13, v196                                     // 000000004E4C: D81A0000 0000C40D
	ds_write_b32 v13, v197 offset:1056                         // 000000004E54: D81A0420 0000C50D
	ds_write_b32 v13, v198 offset:2176                         // 000000004E5C: D81A0880 0000C60D
	ds_write_b32 v13, v199 offset:3232                         // 000000004E64: D81A0CA0 0000C70D
	ds_write_b32 v13, v200 offset:4352                         // 000000004E6C: D81A1100 0000C80D
	ds_write_b32 v13, v201 offset:5408                         // 000000004E74: D81A1520 0000C90D
	ds_write_b32 v13, v202 offset:6528                         // 000000004E7C: D81A1980 0000CA0D
	ds_write_b32 v13, v203 offset:7584                         // 000000004E84: D81A1DA0 0000CB0D
	buffer_load_dword v196, v232, s[16:19], 0 idxen            // 000000004E8C: E0502000 8004C4E8
	buffer_load_dword v197, v233, s[16:19], 0 idxen            // 000000004E94: E0502000 8004C5E9
	s_mul_i32 s60, 4, s7                                       // 000000004E9C: 923C0784
	s_cmp_lt_i32 2, s72                                        // 000000004EA0: BF044882
	s_cselect_b32 s60, s60, 0                                  // 000000004EA4: 853C803C
	v_add_u32_e32 v232, s60, v232                              // 000000004EA8: 69D1D03C
	v_add_u32_e32 v233, s60, v233                              // 000000004EAC: 69D3D23C
	buffer_load_dword v198, v232, s[16:19], 0 idxen            // 000000004EB0: E0502000 8004C6E8
	buffer_load_dword v199, v233, s[16:19], 0 idxen            // 000000004EB8: E0502000 8004C7E9
	s_mul_i32 s60, 4, s7                                       // 000000004EC0: 923C0784
	s_cmp_lt_i32 2, s72                                        // 000000004EC4: BF044882
	s_cselect_b32 s60, s60, 0                                  // 000000004EC8: 853C803C
	v_add_u32_e32 v232, s60, v232                              // 000000004ECC: 69D1D03C
	v_add_u32_e32 v233, s60, v233                              // 000000004ED0: 69D3D23C
	buffer_load_dword v200, v232, s[16:19], 0 idxen            // 000000004ED4: E0502000 8004C8E8
	buffer_load_dword v201, v233, s[16:19], 0 idxen            // 000000004EDC: E0502000 8004C9E9
	s_mul_i32 s60, 4, s7                                       // 000000004EE4: 923C0784
	s_cmp_lt_i32 2, s72                                        // 000000004EE8: BF044882
	s_cselect_b32 s60, s60, 0                                  // 000000004EEC: 853C803C
	v_add_u32_e32 v232, s60, v232                              // 000000004EF0: 69D1D03C
	v_add_u32_e32 v233, s60, v233                              // 000000004EF4: 69D3D23C
	buffer_load_dword v202, v232, s[16:19], 0 idxen            // 000000004EF8: E0502000 8004CAE8
	buffer_load_dword v203, v233, s[16:19], 0 idxen            // 000000004F00: E0502000 8004CBE9
	s_mul_i32 s60, 4, s7                                       // 000000004F08: 923C0784
	s_cmp_lt_i32 3, s72                                        // 000000004F0C: BF044883
	s_cselect_b32 s60, s60, 0                                  // 000000004F10: 853C803C
	v_add_u32_e32 v232, s60, v232                              // 000000004F14: 69D1D03C
	v_add_u32_e32 v233, s60, v233                              // 000000004F18: 69D3D23C
	s_waitcnt lgkmcnt(0)                                       // 000000004F1C: BF8CC07F
	s_barrier                                                  // 000000004F20: BF8A0000
	ds_read_b128 a[56:59], v25 offset:8704                     // 000000004F24: DBFE2200 38000019
	ds_read_b128 a[60:63], v25 offset:8960                     // 000000004F2C: DBFE2300 3C000019
	ds_read_b128 a[64:67], v25 offset:13056                    // 000000004F34: DBFE3300 40000019
	ds_read_b128 a[68:71], v25 offset:13312                    // 000000004F3C: DBFE3400 44000019
	ds_read_b128 a[16:19], v24                                 // 000000004F44: DBFE0000 10000018
	ds_read_b128 a[20:23], v24 offset:512                      // 000000004F4C: DBFE0200 14000018
	s_waitcnt vmcnt(16) lgkmcnt(0)                             // 000000004F54: BF8C4070
	s_barrier                                                  // 000000004F58: BF8A0000
	s_cmp_lt_i32 0, s72                                        // 000000004F5C: BF044880
	s_cbranch_scc1 label_0461                                  // 000000004F60: BF850008
	v_mov_b32_e32 v180, 0                                      // 000000004F64: 7F680280
	v_mov_b32_e32 v181, 0                                      // 000000004F68: 7F6A0280
	v_mov_b32_e32 v182, 0                                      // 000000004F6C: 7F6C0280
	v_mov_b32_e32 v183, 0                                      // 000000004F70: 7F6E0280
	v_mov_b32_e32 v184, 0                                      // 000000004F74: 7F700280
	v_mov_b32_e32 v185, 0                                      // 000000004F78: 7F720280
	v_mov_b32_e32 v186, 0                                      // 000000004F7C: 7F740280
	v_mov_b32_e32 v187, 0                                      // 000000004F80: 7F760280

0000000000004f84 <label_0461>:
	ds_write_b32 v13, v180                                     // 000000004F84: D81A0000 0000B40D
	ds_write_b32 v13, v181 offset:1056                         // 000000004F8C: D81A0420 0000B50D
	ds_write_b32 v13, v182 offset:2176                         // 000000004F94: D81A0880 0000B60D
	ds_write_b32 v13, v183 offset:3232                         // 000000004F9C: D81A0CA0 0000B70D
	ds_write_b32 v13, v184 offset:4352                         // 000000004FA4: D81A1100 0000B80D
	ds_write_b32 v13, v185 offset:5408                         // 000000004FAC: D81A1520 0000B90D
	ds_write_b32 v13, v186 offset:6528                         // 000000004FB4: D81A1980 0000BA0D
	ds_write_b32 v13, v187 offset:7584                         // 000000004FBC: D81A1DA0 0000BB0D
	s_mov_b32 s71, s5                                          // 000000004FC4: BEC70005
	v_lshrrev_b32_e32 v32, 4, v0                               // 000000004FC8: 20400084
	v_and_b32_e32 v33, 1, v32                                  // 000000004FCC: 26424081
	v_lshlrev_b32_e32 v33, 1, v33                              // 000000004FD0: 24424281
	v_mul_i32_i24_e32 v33, s71, v33                            // 000000004FD4: 0C424247
	v_and_b32_e32 v34, 2, v32                                  // 000000004FD8: 26444082
	v_lshlrev_b32_e32 v34, 5, v34                              // 000000004FDC: 24444485
	v_add_u32_e32 v33, v34, v33                                // 000000004FE0: 68424322
	v_and_b32_e32 v32, 15, v0                                  // 000000004FE4: 2640008F
	v_lshlrev_b32_e32 v32, 2, v32                              // 000000004FE8: 24404082
	v_add_u32_e32 v1, v32, v33                                 // 000000004FEC: 68024320
	s_mul_i32 s60, s46, s71                                    // 000000004FF0: 923C472E
	s_mul_i32 s60, s60, 4                                      // 000000004FF4: 923C843C
	v_add_u32_e32 v1, s60, v1                                  // 000000004FF8: 6802023C
	v_add_u32_e32 v2, s71, v1                                  // 000000004FFC: 68040247
	s_mul_i32 s60, 16, s71                                     // 000000005000: 923C4790
	v_add_u32_e32 v3, s60, v1                                  // 000000005004: 6806023C
	v_add_u32_e32 v4, s60, v2                                  // 000000005008: 6808043C
	s_mov_b32 s71, s51                                         // 00000000500C: BEC70033
	v_lshrrev_b32_e32 v32, 4, v0                               // 000000005010: 20400084
	v_and_b32_e32 v33, 1, v32                                  // 000000005014: 26424081
	v_lshlrev_b32_e32 v33, 1, v33                              // 000000005018: 24424281
	v_mul_i32_i24_e32 v33, s71, v33                            // 00000000501C: 0C424247
	v_and_b32_e32 v34, 2, v32                                  // 000000005020: 26444082
	v_lshlrev_b32_e32 v34, 5, v34                              // 000000005024: 24444485
	v_add_u32_e32 v33, v34, v33                                // 000000005028: 68424322
	v_and_b32_e32 v32, 15, v0                                  // 00000000502C: 2640008F
	v_lshlrev_b32_e32 v32, 2, v32                              // 000000005030: 24404082
	v_add_u32_e32 v232, v32, v33                               // 000000005034: 69D04320
	s_mul_i32 s60, s46, s71                                    // 000000005038: 923C472E
	s_mul_i32 s60, s60, 4                                      // 00000000503C: 923C843C
	v_add_u32_e32 v232, s60, v232                              // 000000005040: 69D1D03C
	v_add_u32_e32 v233, s71, v232                              // 000000005044: 69D3D047
	s_mul_i32 s60, 16, s71                                     // 000000005048: 923C4790
	v_add_u32_e32 v234, s60, v232                              // 00000000504C: 69D5D03C
	v_add_u32_e32 v235, s60, v233                              // 000000005050: 69D7D23C
	v_lshrrev_b32_e32 v1, 2, v1                                // 000000005054: 20020282
	v_lshrrev_b32_e32 v2, 2, v2                                // 000000005058: 20040482
	v_lshrrev_b32_e32 v3, 2, v3                                // 00000000505C: 20060682
	v_lshrrev_b32_e32 v4, 2, v4                                // 000000005060: 20080882
	v_lshrrev_b32_e32 v232, 2, v232                            // 000000005064: 21D1D082
	v_lshrrev_b32_e32 v233, 2, v233                            // 000000005068: 21D3D282
	v_lshrrev_b32_e32 v234, 2, v234                            // 00000000506C: 21D5D482
	v_lshrrev_b32_e32 v235, 2, v235                            // 000000005070: 21D7D682
	buffer_load_dword v36, v1, s[8:11], 0 idxen                // 000000005074: E0502000 80022401
	buffer_load_dword v37, v2, s[8:11], 0 idxen                // 00000000507C: E0502000 80022502
	buffer_load_dword v38, v3, s[8:11], 0 idxen                // 000000005084: E0502000 80022603
	buffer_load_dword v39, v4, s[8:11], 0 idxen                // 00000000508C: E0502000 80022704
	buffer_load_dword v44, v232, s[20:23], 0 idxen             // 000000005094: E0502000 80052CE8
	buffer_load_dword v45, v233, s[20:23], 0 idxen             // 00000000509C: E0502000 80052DE9
	buffer_load_dword v46, v234, s[20:23], 0 idxen             // 0000000050A4: E0502000 80052EEA
	buffer_load_dword v47, v235, s[20:23], 0 idxen             // 0000000050AC: E0502000 80052FEB
	s_waitcnt lgkmcnt(0)                                       // 0000000050B4: BF8CC07F
	s_barrier                                                  // 0000000050B8: BF8A0000
	ds_read_b128 a[72:75], v24                                 // 0000000050BC: DBFE0000 48000018
	ds_read_b128 a[76:79], v24 offset:512                      // 0000000050C4: DBFE0200 4C000018
	v_add_u32_e32 v1, s68, v1                                  // 0000000050CC: 68020244
	v_add_u32_e32 v2, s68, v2                                  // 0000000050D0: 68040444
	v_add_u32_e32 v3, s68, v3                                  // 0000000050D4: 68060644
	v_add_u32_e32 v4, s68, v4                                  // 0000000050D8: 68080844
	v_add_u32_e32 v232, s100, v232                             // 0000000050DC: 69D1D064
	v_add_u32_e32 v233, s100, v233                             // 0000000050E0: 69D3D264
	v_add_u32_e32 v234, s100, v234                             // 0000000050E4: 69D5D464
	v_add_u32_e32 v235, s100, v235                             // 0000000050E8: 69D7D664
	s_waitcnt vmcnt(16) lgkmcnt(0)                             // 0000000050EC: BF8C4070
	s_barrier                                                  // 0000000050F0: BF8A0000
	s_cmp_lt_i32 1, s72                                        // 0000000050F4: BF044881
	s_cbranch_scc1 label_04C7                                  // 0000000050F8: BF850008
	v_mov_b32_e32 v188, 0                                      // 0000000050FC: 7F780280
	v_mov_b32_e32 v189, 0                                      // 000000005100: 7F7A0280
	v_mov_b32_e32 v190, 0                                      // 000000005104: 7F7C0280
	v_mov_b32_e32 v191, 0                                      // 000000005108: 7F7E0280
	v_mov_b32_e32 v192, 0                                      // 00000000510C: 7F800280
	v_mov_b32_e32 v193, 0                                      // 000000005110: 7F820280
	v_mov_b32_e32 v194, 0                                      // 000000005114: 7F840280
	v_mov_b32_e32 v195, 0                                      // 000000005118: 7F860280

000000000000511c <label_04C7>:
	ds_write_b32 v13, v188                                     // 00000000511C: D81A0000 0000BC0D
	ds_write_b32 v13, v189 offset:1056                         // 000000005124: D81A0420 0000BD0D
	ds_write_b32 v13, v190 offset:2176                         // 00000000512C: D81A0880 0000BE0D
	ds_write_b32 v13, v191 offset:3232                         // 000000005134: D81A0CA0 0000BF0D
	ds_write_b32 v13, v192 offset:4352                         // 00000000513C: D81A1100 0000C00D
	ds_write_b32 v13, v193 offset:5408                         // 000000005144: D81A1520 0000C10D
	ds_write_b32 v13, v194 offset:6528                         // 00000000514C: D81A1980 0000C20D
	ds_write_b32 v13, v195 offset:7584                         // 000000005154: D81A1DA0 0000C30D
	buffer_load_dword v40, v1, s[8:11], 0 idxen                // 00000000515C: E0502000 80022801
	buffer_load_dword v41, v2, s[8:11], 0 idxen                // 000000005164: E0502000 80022902
	buffer_load_dword v42, v3, s[8:11], 0 idxen                // 00000000516C: E0502000 80022A03
	buffer_load_dword v43, v4, s[8:11], 0 idxen                // 000000005174: E0502000 80022B04
	buffer_load_dword v48, v232, s[20:23], 0 idxen             // 00000000517C: E0502000 800530E8
	buffer_load_dword v49, v233, s[20:23], 0 idxen             // 000000005184: E0502000 800531E9
	buffer_load_dword v50, v234, s[20:23], 0 idxen             // 00000000518C: E0502000 800532EA
	buffer_load_dword v51, v235, s[20:23], 0 idxen             // 000000005194: E0502000 800533EB
	s_waitcnt lgkmcnt(0)                                       // 00000000519C: BF8CC07F
	s_barrier                                                  // 0000000051A0: BF8A0000
	ds_read_b128 a[80:83], v24                                 // 0000000051A4: DBFE0000 50000018
	ds_read_b128 a[84:87], v24 offset:512                      // 0000000051AC: DBFE0200 54000018
	s_add_u32 s60, 64, s59                                     // 0000000051B4: 803C3BC0
	s_cmp_lt_u32 s60, s58                                      // 0000000051B8: BF0A3A3C
	s_cselect_b32 s68, s68, 0                                  // 0000000051BC: 85448044
	s_cselect_b32 s100, s100, 0                                // 0000000051C0: 85648064
	v_add_u32_e32 v1, s68, v1                                  // 0000000051C4: 68020244
	v_add_u32_e32 v2, s68, v2                                  // 0000000051C8: 68040444
	v_add_u32_e32 v3, s68, v3                                  // 0000000051CC: 68060644
	v_add_u32_e32 v4, s68, v4                                  // 0000000051D0: 68080844
	v_add_u32_e32 v232, s100, v232                             // 0000000051D4: 69D1D064
	v_add_u32_e32 v233, s100, v233                             // 0000000051D8: 69D3D264
	v_add_u32_e32 v234, s100, v234                             // 0000000051DC: 69D5D464
	v_add_u32_e32 v235, s100, v235                             // 0000000051E0: 69D7D664
	s_waitcnt vmcnt(16) lgkmcnt(0)                             // 0000000051E4: BF8C4070
	s_barrier                                                  // 0000000051E8: BF8A0000
	s_cmp_lt_i32 2, s72                                        // 0000000051EC: BF044882
	s_cbranch_scc1 label_0505                                  // 0000000051F0: BF850008
	v_mov_b32_e32 v196, 0                                      // 0000000051F4: 7F880280
	v_mov_b32_e32 v197, 0                                      // 0000000051F8: 7F8A0280
	v_mov_b32_e32 v198, 0                                      // 0000000051FC: 7F8C0280
	v_mov_b32_e32 v199, 0                                      // 000000005200: 7F8E0280
	v_mov_b32_e32 v200, 0                                      // 000000005204: 7F900280
	v_mov_b32_e32 v201, 0                                      // 000000005208: 7F920280
	v_mov_b32_e32 v202, 0                                      // 00000000520C: 7F940280
	v_mov_b32_e32 v203, 0                                      // 000000005210: 7F960280

0000000000005214 <label_0505>:
	ds_write_b32 v13, v196                                     // 000000005214: D81A0000 0000C40D
	ds_write_b32 v13, v197 offset:1056                         // 00000000521C: D81A0420 0000C50D
	ds_write_b32 v13, v198 offset:2176                         // 000000005224: D81A0880 0000C60D
	ds_write_b32 v13, v199 offset:3232                         // 00000000522C: D81A0CA0 0000C70D
	ds_write_b32 v13, v200 offset:4352                         // 000000005234: D81A1100 0000C80D
	ds_write_b32 v13, v201 offset:5408                         // 00000000523C: D81A1520 0000C90D
	ds_write_b32 v13, v202 offset:6528                         // 000000005244: D81A1980 0000CA0D
	ds_write_b32 v13, v203 offset:7584                         // 00000000524C: D81A1DA0 0000CB0D
	s_waitcnt lgkmcnt(0)                                       // 000000005254: BF8CC07F
	s_barrier                                                  // 000000005258: BF8A0000
	ds_read_b128 a[88:91], v24                                 // 00000000525C: DBFE0000 58000018
	ds_read_b128 a[92:95], v24 offset:512                      // 000000005264: DBFE0200 5C000018
	s_waitcnt vmcnt(8) lgkmcnt(0)                              // 00000000526C: BF8C0078
	s_barrier                                                  // 000000005270: BF8A0000
	buffer_load_dword v11, s[24:27], 0 idxen lds               // 000000005274: E0512000 8006000B
	s_mov_b32 m0, s81                                          // 00000000527C: BEFC0051
	v_add_u32_e32 v11, s69, v11                                // 000000005280: 68161645
	v_perm_b32 v100, v37, v36, s63                             // 000000005284: D1ED0064 00FE4925
	v_perm_b32 v101, v37, v36, s64                             // 00000000528C: D1ED0065 01024925
	v_perm_b32 v102, v39, v38, s63                             // 000000005294: D1ED0066 00FE4D27
	v_perm_b32 v103, v39, v38, s64                             // 00000000529C: D1ED0067 01024D27
	ds_write_b32 v15, v100 offset:4352                         // 0000000052A4: D81A1100 0000640F
	ds_write_b32 v15, v101 offset:5408                         // 0000000052AC: D81A1520 0000650F
	ds_write_b32 v15, v102 offset:6528                         // 0000000052B4: D81A1980 0000660F
	ds_write_b32 v15, v103 offset:7584                         // 0000000052BC: D81A1DA0 0000670F
	ds_write_b32 v13, v36                                      // 0000000052C4: D81A0000 0000240D
	ds_write_b32 v13, v37 offset:1056                          // 0000000052CC: D81A0420 0000250D
	ds_write_b32 v13, v38 offset:2176                          // 0000000052D4: D81A0880 0000260D
	ds_write_b32 v13, v39 offset:3232                          // 0000000052DC: D81A0CA0 0000270D
	buffer_load_dword v11, s[24:27], 0 idxen lds               // 0000000052E4: E0512000 8006000B
	s_add_u32 s60, 64, s59                                     // 0000000052EC: 803C3BC0
	s_cmp_lt_u32 s60, s58                                      // 0000000052F0: BF0A3A3C
	s_cselect_b32 s69, s69, 0                                  // 0000000052F4: 85458045
	s_mov_b32 m0, s80                                          // 0000000052F8: BEFC0050
	v_add_u32_e32 v11, s69, v11                                // 0000000052FC: 68161645
	v_perm_b32 v104, v45, v44, s63                             // 000000005300: D1ED0068 00FE592D
	v_perm_b32 v105, v45, v44, s64                             // 000000005308: D1ED0069 0102592D
	v_perm_b32 v106, v47, v46, s63                             // 000000005310: D1ED006A 00FE5D2F
	v_perm_b32 v107, v47, v46, s64                             // 000000005318: D1ED006B 01025D2F
	ds_write_b32 v15, v104 offset:13056                        // 000000005320: D81A3300 0000680F
	ds_write_b32 v15, v105 offset:14112                        // 000000005328: D81A3720 0000690F
	ds_write_b32 v15, v106 offset:15232                        // 000000005330: D81A3B80 00006A0F
	ds_write_b32 v15, v107 offset:16288                        // 000000005338: D81A3FA0 00006B0F
	ds_write_b32 v13, v44 offset:8704                          // 000000005340: D81A2200 00002C0D
	ds_write_b32 v13, v45 offset:9760                          // 000000005348: D81A2620 00002D0D
	ds_write_b32 v13, v46 offset:10880                         // 000000005350: D81A2A80 00002E0D
	ds_write_b32 v13, v47 offset:11936                         // 000000005358: D81A2EA0 00002F0D
	s_waitcnt vmcnt(1) lgkmcnt(0)                              // 000000005360: BF8C0071
	s_barrier                                                  // 000000005364: BF8A0000
	ds_read_b128 a[96:99], v12                                 // 000000005368: DBFE0000 6000000C
	ds_read_b128 a[100:103], v12 offset:512                    // 000000005370: DBFE0200 6400000C
	ds_read_b128 a[104:107], v12 offset:2176                   // 000000005378: DBFE0880 6800000C
	ds_read_b128 a[108:111], v12 offset:2688                   // 000000005380: DBFE0A80 6C00000C
	ds_read_b128 v[108:111], v12 offset:8704                   // 000000005388: D9FE2200 6C00000C
	ds_read_b128 v[112:115], v12 offset:9216                   // 000000005390: D9FE2400 7000000C
	ds_read_b128 v[116:119], v12 offset:10880                  // 000000005398: D9FE2A80 7400000C
	ds_read_b128 v[120:123], v12 offset:11392                  // 0000000053A0: D9FE2C80 7800000C
	ds_read_b32 v140, v23 offset:39424                         // 0000000053A8: D86C9A00 8C000017
	ds_read_b32 v144, v23 offset:39488                         // 0000000053B0: D86C9A40 90000017
	ds_read_b32 v176, v23 offset:39680                         // 0000000053B8: D86C9B00 B0000017
	ds_read_b32 v177, v23 offset:39744                         // 0000000053C0: D86C9B40 B1000017
	v_accvgpr_write_b32 a112, 0                                // 0000000053C8: D3D94070 18000080
	v_mov_b32_e32 v180, 0                                      // 0000000053D0: 7F680280
	v_accvgpr_write_b32 a113, 0                                // 0000000053D4: D3D94071 18000080
	v_mov_b32_e32 v181, 0                                      // 0000000053DC: 7F6A0280
	v_accvgpr_write_b32 a114, 0                                // 0000000053E0: D3D94072 18000080
	v_mov_b32_e32 v182, 0                                      // 0000000053E8: 7F6C0280
	v_accvgpr_write_b32 a115, 0                                // 0000000053EC: D3D94073 18000080
	v_mov_b32_e32 v183, 0                                      // 0000000053F4: 7F6E0280
	v_accvgpr_write_b32 a116, 0                                // 0000000053F8: D3D94074 18000080
	v_mov_b32_e32 v184, 0                                      // 000000005400: 7F700280
	v_accvgpr_write_b32 a117, 0                                // 000000005404: D3D94075 18000080
	v_mov_b32_e32 v185, 0                                      // 00000000540C: 7F720280
	v_accvgpr_write_b32 a118, 0                                // 000000005410: D3D94076 18000080
	v_mov_b32_e32 v186, 0                                      // 000000005418: 7F740280
	v_accvgpr_write_b32 a119, 0                                // 00000000541C: D3D94077 18000080
	v_mov_b32_e32 v187, 0                                      // 000000005424: 7F760280
	v_accvgpr_write_b32 a120, 0                                // 000000005428: D3D94078 18000080
	v_mov_b32_e32 v188, 0                                      // 000000005430: 7F780280
	v_accvgpr_write_b32 a121, 0                                // 000000005434: D3D94079 18000080
	v_mov_b32_e32 v189, 0                                      // 00000000543C: 7F7A0280
	v_accvgpr_write_b32 a122, 0                                // 000000005440: D3D9407A 18000080
	v_mov_b32_e32 v190, 0                                      // 000000005448: 7F7C0280
	v_accvgpr_write_b32 a123, 0                                // 00000000544C: D3D9407B 18000080
	v_mov_b32_e32 v191, 0                                      // 000000005454: 7F7E0280
	v_accvgpr_write_b32 a124, 0                                // 000000005458: D3D9407C 18000080
	v_mov_b32_e32 v192, 0                                      // 000000005460: 7F800280
	v_accvgpr_write_b32 a125, 0                                // 000000005464: D3D9407D 18000080
	v_mov_b32_e32 v193, 0                                      // 00000000546C: 7F820280
	v_accvgpr_write_b32 a126, 0                                // 000000005470: D3D9407E 18000080
	v_mov_b32_e32 v194, 0                                      // 000000005478: 7F840280
	v_accvgpr_write_b32 a127, 0                                // 00000000547C: D3D9407F 18000080
	v_mov_b32_e32 v195, 0                                      // 000000005484: 7F860280
	v_accvgpr_write_b32 a128, 0                                // 000000005488: D3D94080 18000080
	v_mov_b32_e32 v196, 0                                      // 000000005490: 7F880280
	v_accvgpr_write_b32 a129, 0                                // 000000005494: D3D94081 18000080
	v_mov_b32_e32 v197, 0                                      // 00000000549C: 7F8A0280
	v_accvgpr_write_b32 a130, 0                                // 0000000054A0: D3D94082 18000080
	v_mov_b32_e32 v198, 0                                      // 0000000054A8: 7F8C0280
	v_accvgpr_write_b32 a131, 0                                // 0000000054AC: D3D94083 18000080
	v_mov_b32_e32 v199, 0                                      // 0000000054B4: 7F8E0280
	v_accvgpr_write_b32 a132, 0                                // 0000000054B8: D3D94084 18000080
	v_mov_b32_e32 v200, 0                                      // 0000000054C0: 7F900280
	v_accvgpr_write_b32 a133, 0                                // 0000000054C4: D3D94085 18000080
	v_mov_b32_e32 v201, 0                                      // 0000000054CC: 7F920280
	v_accvgpr_write_b32 a134, 0                                // 0000000054D0: D3D94086 18000080
	v_mov_b32_e32 v202, 0                                      // 0000000054D8: 7F940280
	v_accvgpr_write_b32 a135, 0                                // 0000000054DC: D3D94087 18000080
	v_mov_b32_e32 v203, 0                                      // 0000000054E4: 7F960280
	v_accvgpr_write_b32 a136, 0                                // 0000000054E8: D3D94088 18000080
	v_mov_b32_e32 v204, 0                                      // 0000000054F0: 7F980280
	v_accvgpr_write_b32 a137, 0                                // 0000000054F4: D3D94089 18000080
	v_mov_b32_e32 v205, 0                                      // 0000000054FC: 7F9A0280
	v_accvgpr_write_b32 a138, 0                                // 000000005500: D3D9408A 18000080
	v_mov_b32_e32 v206, 0                                      // 000000005508: 7F9C0280
	v_accvgpr_write_b32 a139, 0                                // 00000000550C: D3D9408B 18000080
	v_mov_b32_e32 v207, 0                                      // 000000005514: 7F9E0280
	v_accvgpr_write_b32 a140, 0                                // 000000005518: D3D9408C 18000080
	v_mov_b32_e32 v208, 0                                      // 000000005520: 7FA00280
	v_accvgpr_write_b32 a141, 0                                // 000000005524: D3D9408D 18000080
	v_mov_b32_e32 v209, 0                                      // 00000000552C: 7FA20280
	v_accvgpr_write_b32 a142, 0                                // 000000005530: D3D9408E 18000080
	v_mov_b32_e32 v210, 0                                      // 000000005538: 7FA40280
	v_accvgpr_write_b32 a143, 0                                // 00000000553C: D3D9408F 18000080
	v_mov_b32_e32 v211, 0                                      // 000000005544: 7FA60280
	v_accvgpr_write_b32 a144, 0                                // 000000005548: D3D94090 18000080
	v_mov_b32_e32 v212, 0                                      // 000000005550: 7FA80280
	v_accvgpr_write_b32 a145, 0                                // 000000005554: D3D94091 18000080
	v_mov_b32_e32 v213, 0                                      // 00000000555C: 7FAA0280
	v_accvgpr_write_b32 a146, 0                                // 000000005560: D3D94092 18000080
	v_mov_b32_e32 v214, 0                                      // 000000005568: 7FAC0280
	v_accvgpr_write_b32 a147, 0                                // 00000000556C: D3D94093 18000080
	v_mov_b32_e32 v215, 0                                      // 000000005574: 7FAE0280
	v_accvgpr_write_b32 a148, 0                                // 000000005578: D3D94094 18000080
	v_mov_b32_e32 v216, 0                                      // 000000005580: 7FB00280
	v_accvgpr_write_b32 a149, 0                                // 000000005584: D3D94095 18000080
	v_mov_b32_e32 v217, 0                                      // 00000000558C: 7FB20280
	v_accvgpr_write_b32 a150, 0                                // 000000005590: D3D94096 18000080
	v_mov_b32_e32 v218, 0                                      // 000000005598: 7FB40280
	v_accvgpr_write_b32 a151, 0                                // 00000000559C: D3D94097 18000080
	v_mov_b32_e32 v219, 0                                      // 0000000055A4: 7FB60280
	v_accvgpr_write_b32 a152, 0                                // 0000000055A8: D3D94098 18000080
	v_mov_b32_e32 v220, 0                                      // 0000000055B0: 7FB80280
	v_accvgpr_write_b32 a153, 0                                // 0000000055B4: D3D94099 18000080
	v_mov_b32_e32 v221, 0                                      // 0000000055BC: 7FBA0280
	v_accvgpr_write_b32 a154, 0                                // 0000000055C0: D3D9409A 18000080
	v_mov_b32_e32 v222, 0                                      // 0000000055C8: 7FBC0280
	v_accvgpr_write_b32 a155, 0                                // 0000000055CC: D3D9409B 18000080
	v_mov_b32_e32 v223, 0                                      // 0000000055D4: 7FBE0280
	v_accvgpr_write_b32 a156, 0                                // 0000000055D8: D3D9409C 18000080
	v_mov_b32_e32 v224, 0                                      // 0000000055E0: 7FC00280
	v_accvgpr_write_b32 a157, 0                                // 0000000055E4: D3D9409D 18000080
	v_mov_b32_e32 v225, 0                                      // 0000000055EC: 7FC20280
	v_accvgpr_write_b32 a158, 0                                // 0000000055F0: D3D9409E 18000080
	v_mov_b32_e32 v226, 0                                      // 0000000055F8: 7FC40280
	v_accvgpr_write_b32 a159, 0                                // 0000000055FC: D3D9409F 18000080
	v_mov_b32_e32 v227, 0                                      // 000000005604: 7FC60280
	v_mov_b32_e32 v156, 0                                      // 000000005608: 7F380280
	v_mov_b32_e32 v157, 0                                      // 00000000560C: 7F3A0280
	v_mov_b32_e32 v158, 0                                      // 000000005610: 7F3C0280
	v_mov_b32_e32 v159, 0                                      // 000000005614: 7F3E0280
	v_mov_b32_e32 v160, 0                                      // 000000005618: 7F400280
	v_mov_b32_e32 v161, 0                                      // 00000000561C: 7F420280
	v_mov_b32_e32 v162, 0                                      // 000000005620: 7F440280
	v_mov_b32_e32 v163, 0                                      // 000000005624: 7F460280
	v_mov_b32_e32 v148, 0                                      // 000000005628: 7F280280
	v_mov_b32_e32 v149, 0                                      // 00000000562C: 7F2A0280
	v_mov_b32_e32 v150, 0                                      // 000000005630: 7F2C0280
	v_mov_b32_e32 v151, 0                                      // 000000005634: 7F2E0280
	v_mov_b32_e32 v152, 0                                      // 000000005638: 7F300280
	v_mov_b32_e32 v153, 0                                      // 00000000563C: 7F320280
	v_mov_b32_e32 v154, 0                                      // 000000005640: 7F340280
	v_mov_b32_e32 v155, 0                                      // 000000005644: 7F360280
	s_waitcnt lgkmcnt(0)                                       // 000000005648: BF8CC07F
	s_barrier                                                  // 00000000564C: BF8A0000
	buffer_load_dword v36, v1, s[8:11], 0 idxen                // 000000005650: E0502000 80022401
	buffer_load_dword v37, v2, s[8:11], 0 idxen                // 000000005658: E0502000 80022502
	;; [unrolled: 1-line block ×4, first 2 shown]
	buffer_load_dword v44, v232, s[20:23], 0 idxen             // 000000005670: E0502000 80052CE8
	buffer_load_dword v45, v233, s[20:23], 0 idxen             // 000000005678: E0502000 80052DE9
	buffer_load_dword v46, v234, s[20:23], 0 idxen             // 000000005680: E0502000 80052EEA
	buffer_load_dword v47, v235, s[20:23], 0 idxen             // 000000005688: E0502000 80052FEB
	buffer_load_dword v11, s[24:27], 0 idxen lds               // 000000005690: E0512000 8006000B
	s_add_u32 s60, 0x60, s59                                   // 000000005698: 803C3BFF 00000060
	s_cmp_lt_u32 s60, s58                                      // 0000000056A0: BF0A3A3C
	s_cselect_b32 s68, s68, 0                                  // 0000000056A4: 85448044
	s_cselect_b32 s100, s100, 0                                // 0000000056A8: 85648064
	s_cselect_b32 s69, s69, 0                                  // 0000000056AC: 85458045
	s_mov_b32 m0, s81                                          // 0000000056B0: BEFC0051
	v_add_u32_e32 v11, s69, v11                                // 0000000056B4: 68161645
	v_add_u32_e32 v1, s68, v1                                  // 0000000056B8: 68020244
	v_add_u32_e32 v2, s68, v2                                  // 0000000056BC: 68040444
	v_add_u32_e32 v3, s68, v3                                  // 0000000056C0: 68060644
	v_add_u32_e32 v4, s68, v4                                  // 0000000056C4: 68080844
	v_add_u32_e32 v232, s100, v232                             // 0000000056C8: 69D1D064
	v_add_u32_e32 v233, s100, v233                             // 0000000056CC: 69D3D264
	v_add_u32_e32 v234, s100, v234                             // 0000000056D0: 69D5D464
	v_add_u32_e32 v235, s100, v235                             // 0000000056D4: 69D7D664
	v_mul_f32_e32 v140, s48, v140                              // 0000000056D8: 0B191830
	v_mul_f32_e32 v144, s48, v144                              // 0000000056DC: 0B212030
	v_perm_b32 v100, v41, v40, s63                             // 0000000056E0: D1ED0064 00FE5129
	v_perm_b32 v101, v41, v40, s64                             // 0000000056E8: D1ED0065 01025129
	v_perm_b32 v102, v43, v42, s63                             // 0000000056F0: D1ED0066 00FE552B
	v_perm_b32 v103, v43, v42, s64                             // 0000000056F8: D1ED0067 0102552B
	v_perm_b32 v104, v49, v48, s63                             // 000000005700: D1ED0068 00FE6131
	v_perm_b32 v105, v49, v48, s64                             // 000000005708: D1ED0069 01026131
	v_perm_b32 v106, v51, v50, s63                             // 000000005710: D1ED006A 00FE6533
	v_perm_b32 v107, v51, v50, s64                             // 000000005718: D1ED006B 01026533
	v_mov_b32_dpp v143, v140 quad_perm:[3,3,3,3] row_mask:0xf bank_mask:0xf// 000000005720: 7F1E02FA FF00FF8C
	v_mov_b32_dpp v142, v140 quad_perm:[2,2,2,2] row_mask:0xf bank_mask:0xf// 000000005728: 7F1C02FA FF00AA8C
	v_mov_b32_dpp v141, v140 quad_perm:[1,1,1,1] row_mask:0xf bank_mask:0xf// 000000005730: 7F1A02FA FF00558C
	v_mov_b32_dpp v140, v140 quad_perm:[0,0,0,0] row_mask:0xf bank_mask:0xf// 000000005738: 7F1802FA FF00008C
	v_mov_b32_dpp v147, v144 quad_perm:[3,3,3,3] row_mask:0xf bank_mask:0xf// 000000005740: 7F2602FA FF00FF90
	v_mov_b32_dpp v146, v144 quad_perm:[2,2,2,2] row_mask:0xf bank_mask:0xf// 000000005748: 7F2402FA FF00AA90
	v_mov_b32_dpp v145, v144 quad_perm:[1,1,1,1] row_mask:0xf bank_mask:0xf// 000000005750: 7F2202FA FF005590
	v_mov_b32_dpp v144, v144 quad_perm:[0,0,0,0] row_mask:0xf bank_mask:0xf// 000000005758: 7F2002FA FF000090
	s_waitcnt vmcnt(9)                                         // 000000005760: BF8C0F79
	s_barrier                                                  // 000000005764: BF8A0000
	s_cmp_lt_i32 s46, 2                                        // 000000005768: BF04822E
	s_cbranch_scc0 label_1108                                  // 00000000576C: BF840A9A
	s_nop 0                                                    // 000000005770: BF800000
	s_nop 0                                                    // 000000005774: BF800000

0000000000005778 <label_065E>:
	s_waitcnt lgkmcnt(4)                                       // 000000005778: BF8CC47F
	s_barrier                                                  // 00000000577C: BF8A0000
	v_mfma_f32_16x16x16_bf16 v[52:55], a[96:97], a[0:1], 0     // 000000005780: D3E10034 1A020160
	ds_write_b32 v13, v48 offset:8704                          // 000000005788: D81A2200 0000300D
	ds_write_b32 v13, v49 offset:9760                          // 000000005790: D81A2620 0000310D
	v_mfma_f32_16x16x16_bf16 v[52:55], a[98:99], a[2:3], v[52:55]// 000000005798: D3E10034 1CD20562
	v_mul_f32_e32 v148, s47, v148                              // 0000000057A0: 0B29282F
	v_mul_f32_e32 v149, s47, v149                              // 0000000057A4: 0B2B2A2F
	v_mfma_f32_16x16x16_bf16 v[52:55], a[100:101], a[4:5], v[52:55]// 0000000057A8: D3E10034 1CD20964
	ds_write_b32 v13, v50 offset:10880                         // 0000000057B0: D81A2A80 0000320D
	ds_write_b32 v13, v51 offset:11936                         // 0000000057B8: D81A2EA0 0000330D
	v_mfma_f32_16x16x16_bf16 v[52:55], a[102:103], a[6:7], v[52:55]// 0000000057C0: D3E10034 1CD20D66
	v_mul_f32_e32 v150, s47, v150                              // 0000000057C8: 0B2D2C2F
	v_mul_f32_e32 v151, s47, v151                              // 0000000057CC: 0B2F2E2F
	v_mfma_f32_16x16x16_bf16 v[56:59], a[96:97], a[8:9], 0     // 0000000057D0: D3E10038 1A021160
	ds_write_b64 v22, v[148:149] offset:31232                  // 0000000057D8: D89A7A00 00009416
	v_mfma_f32_16x16x16_bf16 v[56:59], a[98:99], a[10:11], v[56:59]// 0000000057E0: D3E10038 1CE21562
	v_mul_f32_e32 v152, s47, v152                              // 0000000057E8: 0B31302F
	v_mul_f32_e32 v153, s47, v153                              // 0000000057EC: 0B33322F
	v_mfma_f32_16x16x16_bf16 v[56:59], a[100:101], a[12:13], v[56:59]// 0000000057F0: D3E10038 1CE21964
	ds_write_b64 v22, v[150:151] offset:31744                  // 0000000057F8: D89A7C00 00009616
	v_mfma_f32_16x16x16_bf16 v[56:59], a[102:103], a[14:15], v[56:59]// 000000005800: D3E10038 1CE21D66
	v_mul_f32_e32 v154, s47, v154                              // 000000005808: 0B35342F
	v_mul_f32_e32 v155, s47, v155                              // 00000000580C: 0B37362F
	v_mfma_f32_16x16x16_bf16 v[60:63], a[96:97], a[16:17], 0   // 000000005810: D3E1003C 1A022160
	ds_write_b64 v22, v[152:153] offset:32256                  // 000000005818: D89A7E00 00009816
	v_mfma_f32_16x16x16_bf16 v[60:63], a[98:99], a[18:19], v[60:63]// 000000005820: D3E1003C 1CF22562
	buffer_atomic_add_f32 v160, v8, s[32:35], 0 idxen          // 000000005828: E1342000 8008A008
	v_mfma_f32_16x16x16_bf16 v[60:63], a[100:101], a[20:21], v[60:63]// 000000005830: D3E1003C 1CF22964
	ds_write_b64 v22, v[154:155] offset:32768                  // 000000005838: D89A8000 00009A16
	v_mfma_f32_16x16x16_bf16 v[60:63], a[102:103], a[22:23], v[60:63]// 000000005840: D3E1003C 1CF22D66
	v_mfma_f32_16x16x16_bf16 v[64:67], a[104:105], a[0:1], 0   // 000000005848: D3E10040 1A020168
	ds_read_b128 v[124:127], v14 offset:13056                  // 000000005850: D9FE3300 7C00000E
	ds_write_b32 v13, v40                                      // 000000005858: D81A0000 0000280D
	v_mfma_f32_16x16x16_bf16 v[64:67], a[106:107], a[2:3], v[64:67]// 000000005860: D3E10040 1D02056A
	buffer_atomic_add_f32 v161, v9, s[32:35], 0 idxen          // 000000005868: E1342000 8008A109
	v_mfma_f32_16x16x16_bf16 v[64:67], a[108:109], a[4:5], v[64:67]// 000000005870: D3E10040 1D02096C
	v_mfma_f32_16x16x16_bf16 v[64:67], a[110:111], a[6:7], v[64:67]// 000000005878: D3E10040 1D020D6E
	ds_read_b128 v[128:131], v14 offset:13568                  // 000000005880: D9FE3500 8000000E
	ds_write_b32 v13, v41 offset:1056                          // 000000005888: D81A0420 0000290D
	v_mfma_f32_16x16x16_bf16 v[68:71], a[104:105], a[8:9], 0   // 000000005890: D3E10044 1A021168
	buffer_atomic_add_f32 v162, v8, s[32:35], 0 idxen offset:128// 000000005898: E1342080 8008A208
	v_mfma_f32_16x16x16_bf16 v[68:71], a[106:107], a[10:11], v[68:71]// 0000000058A0: D3E10044 1D12156A
	v_mfma_f32_16x16x16_bf16 v[68:71], a[108:109], a[12:13], v[68:71]// 0000000058A8: D3E10044 1D12196C
	ds_read_b128 v[132:135], v14 offset:15232                  // 0000000058B0: D9FE3B80 8400000E
	ds_write_b32 v13, v42 offset:2176                          // 0000000058B8: D81A0880 00002A0D
	v_mfma_f32_16x16x16_bf16 v[68:71], a[110:111], a[14:15], v[68:71]// 0000000058C0: D3E10044 1D121D6E
	v_mfma_f32_16x16x16_bf16 v[72:75], a[104:105], a[16:17], 0 // 0000000058C8: D3E10048 1A022168
	buffer_atomic_add_f32 v163, v9, s[32:35], 0 idxen offset:128// 0000000058D0: E1342080 8008A309
	v_mfma_f32_16x16x16_bf16 v[72:75], a[106:107], a[18:19], v[72:75]// 0000000058D8: D3E10048 1D22256A
	ds_read_b128 v[136:139], v14 offset:15744                  // 0000000058E0: D9FE3D80 8800000E
	ds_write_b32 v13, v43 offset:3232                          // 0000000058E8: D81A0CA0 00002B0D
	v_mfma_f32_16x16x16_bf16 v[72:75], a[108:109], a[20:21], v[72:75]// 0000000058F0: D3E10048 1D22296C
	v_mfma_f32_16x16x16_bf16 v[72:75], a[110:111], a[22:23], v[72:75]// 0000000058F8: D3E10048 1D222D6E
	s_cmp_lt_i32 s74, 12                                       // 000000005900: BF048C4A
	s_cbranch_scc0 label_07A8                                  // 000000005904: BF8400E6
	s_mov_b32 s60, 0xffe0fffe                                  // 000000005908: BEBC00FF FFE0FFFE
	s_mov_b32 s61, 0xe000fe00                                  // 000000005910: BEBD00FF E000FE00
	s_nop 0                                                    // 000000005918: BF800000
	s_add_u32 s62, 0, s46                                      // 00000000591C: 803E2E80
	s_cmp_lt_i32 s74, s62                                      // 000000005920: BF043E4A
	s_cbranch_scc1 label_06F2                                  // 000000005924: BF850028
	s_cmp_eq_i32 s74, s62                                      // 000000005928: BF003E4A
	s_cbranch_scc1 label_06D7                                  // 00000000592C: BF85000B
	s_add_u32 s62, 4, s46                                      // 000000005930: 803E2E84
	s_cmp_lt_i32 s74, s62                                      // 000000005934: BF043E4A
	s_cbranch_scc1 label_0712                                  // 000000005938: BF850043
	s_cmp_eq_i32 s74, s62                                      // 00000000593C: BF003E4A
	s_cbranch_scc1 label_06F7                                  // 000000005940: BF850026
	s_add_u32 s62, 8, s46                                      // 000000005944: 803E2E88
	s_cmp_lt_i32 s74, s62                                      // 000000005948: BF043E4A
	s_cbranch_scc1 label_0732                                  // 00000000594C: BF85005E
	s_cmp_eq_i32 s74, s62                                      // 000000005950: BF003E4A
	s_cbranch_scc1 label_0717                                  // 000000005954: BF850041
	s_branch label_0737                                        // 000000005958: BF820060

000000000000595c <label_06D7>:
	v_cndmask_b32_e64 v52, v52, v178, s[60:61]                 // 00000000595C: D1000034 00F36534
	s_lshl_b32 s60, s60, 1                                     // 000000005964: 8E3C813C
	s_lshl_b32 s61, s61, 1                                     // 000000005968: 8E3D813D
	s_and_b32 s60, 0xfffeffff, s60                             // 00000000596C: 863C3CFF FFFEFFFF
	s_and_b32 s61, 0xfffeffff, s61                             // 000000005974: 863D3DFF FFFEFFFF
	v_cndmask_b32_e64 v53, v53, v178, s[60:61]                 // 00000000597C: D1000035 00F36535
	s_lshl_b32 s60, s60, 1                                     // 000000005984: 8E3C813C
	s_lshl_b32 s61, s61, 1                                     // 000000005988: 8E3D813D
	s_and_b32 s60, 0xfffeffff, s60                             // 00000000598C: 863C3CFF FFFEFFFF
	s_and_b32 s61, 0xfffeffff, s61                             // 000000005994: 863D3DFF FFFEFFFF
	v_cndmask_b32_e64 v54, v54, v178, s[60:61]                 // 00000000599C: D1000036 00F36536
	s_lshl_b32 s60, s60, 1                                     // 0000000059A4: 8E3C813C
	s_lshl_b32 s61, s61, 1                                     // 0000000059A8: 8E3D813D
	s_and_b32 s60, 0xfffeffff, s60                             // 0000000059AC: 863C3CFF FFFEFFFF
	s_and_b32 s61, 0xfffeffff, s61                             // 0000000059B4: 863D3DFF FFFEFFFF
	v_cndmask_b32_e64 v55, v55, v178, s[60:61]                 // 0000000059BC: D1000037 00F36537
	s_branch label_0712                                        // 0000000059C4: BF820020

00000000000059c8 <label_06F2>:
	v_mov_b32_e32 v52, v178                                    // 0000000059C8: 7E6803B2
	v_mov_b32_e32 v53, v178                                    // 0000000059CC: 7E6A03B2
	v_mov_b32_e32 v54, v178                                    // 0000000059D0: 7E6C03B2
	v_mov_b32_e32 v55, v178                                    // 0000000059D4: 7E6E03B2
	s_branch label_0712                                        // 0000000059D8: BF82001B

00000000000059dc <label_06F7>:
	v_cndmask_b32_e64 v56, v56, v178, s[60:61]                 // 0000000059DC: D1000038 00F36538
	s_lshl_b32 s60, s60, 1                                     // 0000000059E4: 8E3C813C
	s_lshl_b32 s61, s61, 1                                     // 0000000059E8: 8E3D813D
	s_and_b32 s60, 0xfffeffff, s60                             // 0000000059EC: 863C3CFF FFFEFFFF
	s_and_b32 s61, 0xfffeffff, s61                             // 0000000059F4: 863D3DFF FFFEFFFF
	v_cndmask_b32_e64 v57, v57, v178, s[60:61]                 // 0000000059FC: D1000039 00F36539
	s_lshl_b32 s60, s60, 1                                     // 000000005A04: 8E3C813C
	s_lshl_b32 s61, s61, 1                                     // 000000005A08: 8E3D813D
	s_and_b32 s60, 0xfffeffff, s60                             // 000000005A0C: 863C3CFF FFFEFFFF
	s_and_b32 s61, 0xfffeffff, s61                             // 000000005A14: 863D3DFF FFFEFFFF
	v_cndmask_b32_e64 v58, v58, v178, s[60:61]                 // 000000005A1C: D100003A 00F3653A
	s_lshl_b32 s60, s60, 1                                     // 000000005A24: 8E3C813C
	s_lshl_b32 s61, s61, 1                                     // 000000005A28: 8E3D813D
	s_and_b32 s60, 0xfffeffff, s60                             // 000000005A2C: 863C3CFF FFFEFFFF
	s_and_b32 s61, 0xfffeffff, s61                             // 000000005A34: 863D3DFF FFFEFFFF
	v_cndmask_b32_e64 v59, v59, v178, s[60:61]                 // 000000005A3C: D100003B 00F3653B
	s_branch label_0732                                        // 000000005A44: BF820020

0000000000005a48 <label_0712>:
	v_mov_b32_e32 v56, v178                                    // 000000005A48: 7E7003B2
	v_mov_b32_e32 v57, v178                                    // 000000005A4C: 7E7203B2
	v_mov_b32_e32 v58, v178                                    // 000000005A50: 7E7403B2
	v_mov_b32_e32 v59, v178                                    // 000000005A54: 7E7603B2
	s_branch label_0732                                        // 000000005A58: BF82001B

0000000000005a5c <label_0717>:
	v_cndmask_b32_e64 v60, v60, v178, s[60:61]                 // 000000005A5C: D100003C 00F3653C
	s_lshl_b32 s60, s60, 1                                     // 000000005A64: 8E3C813C
	s_lshl_b32 s61, s61, 1                                     // 000000005A68: 8E3D813D
	s_and_b32 s60, 0xfffeffff, s60                             // 000000005A6C: 863C3CFF FFFEFFFF
	s_and_b32 s61, 0xfffeffff, s61                             // 000000005A74: 863D3DFF FFFEFFFF
	v_cndmask_b32_e64 v61, v61, v178, s[60:61]                 // 000000005A7C: D100003D 00F3653D
	s_lshl_b32 s60, s60, 1                                     // 000000005A84: 8E3C813C
	s_lshl_b32 s61, s61, 1                                     // 000000005A88: 8E3D813D
	s_and_b32 s60, 0xfffeffff, s60                             // 000000005A8C: 863C3CFF FFFEFFFF
	s_and_b32 s61, 0xfffeffff, s61                             // 000000005A94: 863D3DFF FFFEFFFF
	v_cndmask_b32_e64 v62, v62, v178, s[60:61]                 // 000000005A9C: D100003E 00F3653E
	s_lshl_b32 s60, s60, 1                                     // 000000005AA4: 8E3C813C
	s_lshl_b32 s61, s61, 1                                     // 000000005AA8: 8E3D813D
	s_and_b32 s60, 0xfffeffff, s60                             // 000000005AAC: 863C3CFF FFFEFFFF
	s_and_b32 s61, 0xfffeffff, s61                             // 000000005AB4: 863D3DFF FFFEFFFF
	v_cndmask_b32_e64 v63, v63, v178, s[60:61]                 // 000000005ABC: D100003F 00F3653F
	s_branch label_0737                                        // 000000005AC4: BF820005

0000000000005ac8 <label_0732>:
	v_mov_b32_e32 v60, v178                                    // 000000005AC8: 7E7803B2
	v_mov_b32_e32 v61, v178                                    // 000000005ACC: 7E7A03B2
	v_mov_b32_e32 v62, v178                                    // 000000005AD0: 7E7C03B2
	v_mov_b32_e32 v63, v178                                    // 000000005AD4: 7E7E03B2
	s_branch label_0737                                        // 000000005AD8: BF820000

0000000000005adc <label_0737>:
	s_addk_i32 s74, 0x1                                        // 000000005ADC: B74A0001
	s_add_u32 s62, 0, s46                                      // 000000005AE0: 803E2E80
	s_cmp_lt_i32 s74, s62                                      // 000000005AE4: BF043E4A
	s_cbranch_scc1 label_0763                                  // 000000005AE8: BF850028
	s_cmp_eq_i32 s74, s62                                      // 000000005AEC: BF003E4A
	s_cbranch_scc1 label_0748                                  // 000000005AF0: BF85000B
	s_add_u32 s62, 4, s46                                      // 000000005AF4: 803E2E84
	s_cmp_lt_i32 s74, s62                                      // 000000005AF8: BF043E4A
	s_cbranch_scc1 label_0783                                  // 000000005AFC: BF850043
	s_cmp_eq_i32 s74, s62                                      // 000000005B00: BF003E4A
	s_cbranch_scc1 label_0768                                  // 000000005B04: BF850026
	s_add_u32 s62, 8, s46                                      // 000000005B08: 803E2E88
	s_cmp_lt_i32 s74, s62                                      // 000000005B0C: BF043E4A
	s_cbranch_scc1 label_07A3                                  // 000000005B10: BF85005E
	s_cmp_eq_i32 s74, s62                                      // 000000005B14: BF003E4A
	s_cbranch_scc1 label_0788                                  // 000000005B18: BF850041
	s_branch label_07A8                                        // 000000005B1C: BF820060

0000000000005b20 <label_0748>:
	v_cndmask_b32_e64 v64, v64, v178, s[60:61]                 // 000000005B20: D1000040 00F36540
	s_lshl_b32 s60, s60, 1                                     // 000000005B28: 8E3C813C
	s_lshl_b32 s61, s61, 1                                     // 000000005B2C: 8E3D813D
	s_and_b32 s60, 0xfffeffff, s60                             // 000000005B30: 863C3CFF FFFEFFFF
	s_and_b32 s61, 0xfffeffff, s61                             // 000000005B38: 863D3DFF FFFEFFFF
	v_cndmask_b32_e64 v65, v65, v178, s[60:61]                 // 000000005B40: D1000041 00F36541
	s_lshl_b32 s60, s60, 1                                     // 000000005B48: 8E3C813C
	s_lshl_b32 s61, s61, 1                                     // 000000005B4C: 8E3D813D
	s_and_b32 s60, 0xfffeffff, s60                             // 000000005B50: 863C3CFF FFFEFFFF
	s_and_b32 s61, 0xfffeffff, s61                             // 000000005B58: 863D3DFF FFFEFFFF
	v_cndmask_b32_e64 v66, v66, v178, s[60:61]                 // 000000005B60: D1000042 00F36542
	s_lshl_b32 s60, s60, 1                                     // 000000005B68: 8E3C813C
	s_lshl_b32 s61, s61, 1                                     // 000000005B6C: 8E3D813D
	s_and_b32 s60, 0xfffeffff, s60                             // 000000005B70: 863C3CFF FFFEFFFF
	s_and_b32 s61, 0xfffeffff, s61                             // 000000005B78: 863D3DFF FFFEFFFF
	v_cndmask_b32_e64 v67, v67, v178, s[60:61]                 // 000000005B80: D1000043 00F36543
	s_branch label_0783                                        // 000000005B88: BF820020

0000000000005b8c <label_0763>:
	v_mov_b32_e32 v64, v178                                    // 000000005B8C: 7E8003B2
	v_mov_b32_e32 v65, v178                                    // 000000005B90: 7E8203B2
	v_mov_b32_e32 v66, v178                                    // 000000005B94: 7E8403B2
	v_mov_b32_e32 v67, v178                                    // 000000005B98: 7E8603B2
	s_branch label_0783                                        // 000000005B9C: BF82001B

0000000000005ba0 <label_0768>:
	v_cndmask_b32_e64 v68, v68, v178, s[60:61]                 // 000000005BA0: D1000044 00F36544
	s_lshl_b32 s60, s60, 1                                     // 000000005BA8: 8E3C813C
	s_lshl_b32 s61, s61, 1                                     // 000000005BAC: 8E3D813D
	s_and_b32 s60, 0xfffeffff, s60                             // 000000005BB0: 863C3CFF FFFEFFFF
	s_and_b32 s61, 0xfffeffff, s61                             // 000000005BB8: 863D3DFF FFFEFFFF
	v_cndmask_b32_e64 v69, v69, v178, s[60:61]                 // 000000005BC0: D1000045 00F36545
	s_lshl_b32 s60, s60, 1                                     // 000000005BC8: 8E3C813C
	s_lshl_b32 s61, s61, 1                                     // 000000005BCC: 8E3D813D
	s_and_b32 s60, 0xfffeffff, s60                             // 000000005BD0: 863C3CFF FFFEFFFF
	s_and_b32 s61, 0xfffeffff, s61                             // 000000005BD8: 863D3DFF FFFEFFFF
	v_cndmask_b32_e64 v70, v70, v178, s[60:61]                 // 000000005BE0: D1000046 00F36546
	s_lshl_b32 s60, s60, 1                                     // 000000005BE8: 8E3C813C
	s_lshl_b32 s61, s61, 1                                     // 000000005BEC: 8E3D813D
	s_and_b32 s60, 0xfffeffff, s60                             // 000000005BF0: 863C3CFF FFFEFFFF
	s_and_b32 s61, 0xfffeffff, s61                             // 000000005BF8: 863D3DFF FFFEFFFF
	v_cndmask_b32_e64 v71, v71, v178, s[60:61]                 // 000000005C00: D1000047 00F36547
	s_branch label_07A3                                        // 000000005C08: BF820020

0000000000005c0c <label_0783>:
	v_mov_b32_e32 v68, v178                                    // 000000005C0C: 7E8803B2
	v_mov_b32_e32 v69, v178                                    // 000000005C10: 7E8A03B2
	v_mov_b32_e32 v70, v178                                    // 000000005C14: 7E8C03B2
	v_mov_b32_e32 v71, v178                                    // 000000005C18: 7E8E03B2
	s_branch label_07A3                                        // 000000005C1C: BF82001B

0000000000005c20 <label_0788>:
	v_cndmask_b32_e64 v72, v72, v178, s[60:61]                 // 000000005C20: D1000048 00F36548
	s_lshl_b32 s60, s60, 1                                     // 000000005C28: 8E3C813C
	s_lshl_b32 s61, s61, 1                                     // 000000005C2C: 8E3D813D
	s_and_b32 s60, 0xfffeffff, s60                             // 000000005C30: 863C3CFF FFFEFFFF
	s_and_b32 s61, 0xfffeffff, s61                             // 000000005C38: 863D3DFF FFFEFFFF
	v_cndmask_b32_e64 v73, v73, v178, s[60:61]                 // 000000005C40: D1000049 00F36549
	s_lshl_b32 s60, s60, 1                                     // 000000005C48: 8E3C813C
	s_lshl_b32 s61, s61, 1                                     // 000000005C4C: 8E3D813D
	s_and_b32 s60, 0xfffeffff, s60                             // 000000005C50: 863C3CFF FFFEFFFF
	s_and_b32 s61, 0xfffeffff, s61                             // 000000005C58: 863D3DFF FFFEFFFF
	v_cndmask_b32_e64 v74, v74, v178, s[60:61]                 // 000000005C60: D100004A 00F3654A
	s_lshl_b32 s60, s60, 1                                     // 000000005C68: 8E3C813C
	s_lshl_b32 s61, s61, 1                                     // 000000005C6C: 8E3D813D
	s_and_b32 s60, 0xfffeffff, s60                             // 000000005C70: 863C3CFF FFFEFFFF
	s_and_b32 s61, 0xfffeffff, s61                             // 000000005C78: 863D3DFF FFFEFFFF
	v_cndmask_b32_e64 v75, v75, v178, s[60:61]                 // 000000005C80: D100004B 00F3654B
	s_branch label_07A8                                        // 000000005C88: BF820005

0000000000005c8c <label_07A3>:
	v_mov_b32_e32 v72, v178                                    // 000000005C8C: 7E9003B2
	v_mov_b32_e32 v73, v178                                    // 000000005C90: 7E9203B2
	v_mov_b32_e32 v74, v178                                    // 000000005C94: 7E9403B2
	v_mov_b32_e32 v75, v178                                    // 000000005C98: 7E9603B2
	s_branch label_07A8                                        // 000000005C9C: BF820000

0000000000005ca0 <label_07A8>:
	s_cmp_lt_i32 s84, 0xc0                                     // 000000005CA0: BF04FF54 000000C0
	s_cbranch_scc0 label_0821                                  // 000000005CA8: BF84006D
	s_cmp_le_i32 s84, 64                                       // 000000005CAC: BF05C054
	s_cbranch_scc1 label_07B4                                  // 000000005CB0: BF850007
	s_cmp_le_i32 s84, 0x80                                     // 000000005CB4: BF05FF54 00000080
	s_cbranch_scc1 label_07D8                                  // 000000005CBC: BF85001F
	s_cmp_lt_i32 s84, 0xc0                                     // 000000005CC0: BF04FF54 000000C0
	s_cbranch_scc1 label_07FC                                  // 000000005CC8: BF850040
	s_branch label_0821                                        // 000000005CCC: BF820064

0000000000005cd0 <label_07B4>:
	s_mov_b32 s60, 0                                           // 000000005CD0: BEBC0080
	v_and_b32_e32 v32, 15, v0                                  // 000000005CD4: 2640008F
	v_add_u32_e64 v32, v32, s60                                // 000000005CD8: D1340020 00007920
	v_mul_i32_i24_e64 v33, s46, 16                             // 000000005CE0: D1060021 0001202E
	v_add_u32_e32 v32, v32, v33                                // 000000005CE8: 68404320
	v_cmp_lt_u32_e64 s[60:61], v32, s84                        // 000000005CEC: D0C9003C 0000A920
	s_nop 1                                                    // 000000005CF4: BF800001
	v_cndmask_b32_e64 v52, v178, v52, s[60:61]                 // 000000005CF8: D1000034 00F269B2
	v_cndmask_b32_e64 v64, v178, v64, s[60:61]                 // 000000005D00: D1000040 00F281B2
	v_cndmask_b32_e64 v53, v178, v53, s[60:61]                 // 000000005D08: D1000035 00F26BB2
	v_cndmask_b32_e64 v65, v178, v65, s[60:61]                 // 000000005D10: D1000041 00F283B2
	v_cndmask_b32_e64 v54, v178, v54, s[60:61]                 // 000000005D18: D1000036 00F26DB2
	v_cndmask_b32_e64 v66, v178, v66, s[60:61]                 // 000000005D20: D1000042 00F285B2
	v_cndmask_b32_e64 v55, v178, v55, s[60:61]                 // 000000005D28: D1000037 00F26FB2
	v_cndmask_b32_e64 v67, v178, v67, s[60:61]                 // 000000005D30: D1000043 00F287B2
	s_branch label_07F3                                        // 000000005D38: BF82001B

0000000000005d3c <label_07D8>:
	s_mov_b32 s60, 64                                          // 000000005D3C: BEBC00C0
	v_and_b32_e32 v32, 15, v0                                  // 000000005D40: 2640008F
	v_add_u32_e64 v32, v32, s60                                // 000000005D44: D1340020 00007920
	v_mul_i32_i24_e64 v33, s46, 16                             // 000000005D4C: D1060021 0001202E
	v_add_u32_e32 v32, v32, v33                                // 000000005D54: 68404320
	v_cmp_lt_u32_e64 s[60:61], v32, s84                        // 000000005D58: D0C9003C 0000A920
	s_nop 1                                                    // 000000005D60: BF800001
	v_cndmask_b32_e64 v56, v178, v56, s[60:61]                 // 000000005D64: D1000038 00F271B2
	v_cndmask_b32_e64 v68, v178, v68, s[60:61]                 // 000000005D6C: D1000044 00F289B2
	v_cndmask_b32_e64 v57, v178, v57, s[60:61]                 // 000000005D74: D1000039 00F273B2
	v_cndmask_b32_e64 v69, v178, v69, s[60:61]                 // 000000005D7C: D1000045 00F28BB2
	v_cndmask_b32_e64 v58, v178, v58, s[60:61]                 // 000000005D84: D100003A 00F275B2
	v_cndmask_b32_e64 v70, v178, v70, s[60:61]                 // 000000005D8C: D1000046 00F28DB2
	v_cndmask_b32_e64 v59, v178, v59, s[60:61]                 // 000000005D94: D100003B 00F277B2
	v_cndmask_b32_e64 v71, v178, v71, s[60:61]                 // 000000005D9C: D1000047 00F28FB2
	s_branch label_0818                                        // 000000005DA4: BF820025

0000000000005da8 <label_07F3>:
	v_mov_b32_e32 v56, v178                                    // 000000005DA8: 7E7003B2
	v_mov_b32_e32 v68, v178                                    // 000000005DAC: 7E8803B2
	v_mov_b32_e32 v57, v178                                    // 000000005DB0: 7E7203B2
	v_mov_b32_e32 v69, v178                                    // 000000005DB4: 7E8A03B2
	v_mov_b32_e32 v58, v178                                    // 000000005DB8: 7E7403B2
	v_mov_b32_e32 v70, v178                                    // 000000005DBC: 7E8C03B2
	v_mov_b32_e32 v59, v178                                    // 000000005DC0: 7E7603B2
	v_mov_b32_e32 v71, v178                                    // 000000005DC4: 7E8E03B2
	s_branch label_0818                                        // 000000005DC8: BF82001C

0000000000005dcc <label_07FC>:
	s_mov_b32 s60, 0x80                                        // 000000005DCC: BEBC00FF 00000080
	v_and_b32_e32 v32, 15, v0                                  // 000000005DD4: 2640008F
	v_add_u32_e64 v32, v32, s60                                // 000000005DD8: D1340020 00007920
	v_mul_i32_i24_e64 v33, s46, 16                             // 000000005DE0: D1060021 0001202E
	v_add_u32_e32 v32, v32, v33                                // 000000005DE8: 68404320
	v_cmp_lt_u32_e64 s[60:61], v32, s84                        // 000000005DEC: D0C9003C 0000A920
	s_nop 1                                                    // 000000005DF4: BF800001
	v_cndmask_b32_e64 v60, v178, v60, s[60:61]                 // 000000005DF8: D100003C 00F279B2
	v_cndmask_b32_e64 v72, v178, v72, s[60:61]                 // 000000005E00: D1000048 00F291B2
	v_cndmask_b32_e64 v61, v178, v61, s[60:61]                 // 000000005E08: D100003D 00F27BB2
	v_cndmask_b32_e64 v73, v178, v73, s[60:61]                 // 000000005E10: D1000049 00F293B2
	v_cndmask_b32_e64 v62, v178, v62, s[60:61]                 // 000000005E18: D100003E 00F27DB2
	v_cndmask_b32_e64 v74, v178, v74, s[60:61]                 // 000000005E20: D100004A 00F295B2
	v_cndmask_b32_e64 v63, v178, v63, s[60:61]                 // 000000005E28: D100003F 00F27FB2
	v_cndmask_b32_e64 v75, v178, v75, s[60:61]                 // 000000005E30: D100004B 00F297B2
	s_branch label_0821                                        // 000000005E38: BF820009

0000000000005e3c <label_0818>:
	v_mov_b32_e32 v60, v178                                    // 000000005E3C: 7E7803B2
	v_mov_b32_e32 v72, v178                                    // 000000005E40: 7E9003B2
	v_mov_b32_e32 v61, v178                                    // 000000005E44: 7E7A03B2
	v_mov_b32_e32 v73, v178                                    // 000000005E48: 7E9203B2
	v_mov_b32_e32 v62, v178                                    // 000000005E4C: 7E7C03B2
	v_mov_b32_e32 v74, v178                                    // 000000005E50: 7E9403B2
	v_mov_b32_e32 v63, v178                                    // 000000005E54: 7E7E03B2
	v_mov_b32_e32 v75, v178                                    // 000000005E58: 7E9603B2
	s_branch label_0821                                        // 000000005E5C: BF820000

0000000000005e60 <label_0821>:
	s_addk_i32 s74, 0x1                                        // 000000005E60: B74A0001
	s_waitcnt lgkmcnt(8)                                       // 000000005E64: BF8CC87F
	s_barrier                                                  // 000000005E68: BF8A0000
	v_mfma_f32_16x16x16_bf16 v[76:79], v[108:109], a[72:73], 0 // 000000005E6C: D3E1004C 1202916C
	ds_read_b128 a[96:99], v14 offset:4352                     // 000000005E74: DBFE1100 6000000E
	ds_read_b128 a[100:103], v14 offset:4864                   // 000000005E7C: DBFE1300 6400000E
	v_mfma_f32_16x16x16_bf16 v[76:79], v[110:111], a[74:75], v[76:79]// 000000005E84: D3E1004C 1532956E
	v_fma_f32 v52, v52, s57, -v140                             // 000000005E8C: D1CB0034 86307334
	v_fma_f32 v53, v53, s57, -v141                             // 000000005E94: D1CB0035 86347335
	v_fma_f32 v54, v54, s57, -v142                             // 000000005E9C: D1CB0036 86387336
	v_fma_f32 v55, v55, s57, -v143                             // 000000005EA4: D1CB0037 863C7337
	v_fma_f32 v56, v56, s57, -v140                             // 000000005EAC: D1CB0038 86307338
	v_fma_f32 v57, v57, s57, -v141                             // 000000005EB4: D1CB0039 86347339
	v_mfma_f32_16x16x16_bf16 v[76:79], v[112:113], a[76:77], v[76:79]// 000000005EBC: D3E1004C 15329970
	v_fma_f32 v58, v58, s57, -v142                             // 000000005EC4: D1CB003A 8638733A
	v_fma_f32 v59, v59, s57, -v143                             // 000000005ECC: D1CB003B 863C733B
	v_fma_f32 v60, v60, s57, -v140                             // 000000005ED4: D1CB003C 8630733C
	v_fma_f32 v61, v61, s57, -v141                             // 000000005EDC: D1CB003D 8634733D
	v_fma_f32 v62, v62, s57, -v142                             // 000000005EE4: D1CB003E 8638733E
	v_fma_f32 v63, v63, s57, -v143                             // 000000005EEC: D1CB003F 863C733F
	v_mfma_f32_16x16x16_bf16 v[76:79], v[114:115], a[78:79], v[76:79]// 000000005EF4: D3E1004C 15329D72
	v_fma_f32 v64, v64, s57, -v144                             // 000000005EFC: D1CB0040 86407340
	v_fma_f32 v65, v65, s57, -v145                             // 000000005F04: D1CB0041 86447341
	v_fma_f32 v66, v66, s57, -v146                             // 000000005F0C: D1CB0042 86487342
	v_fma_f32 v67, v67, s57, -v147                             // 000000005F14: D1CB0043 864C7343
	v_fma_f32 v68, v68, s57, -v144                             // 000000005F1C: D1CB0044 86407344
	v_fma_f32 v69, v69, s57, -v145                             // 000000005F24: D1CB0045 86447345
	v_mfma_f32_16x16x16_bf16 v[80:83], v[108:109], a[80:81], 0 // 000000005F2C: D3E10050 1202A16C
	ds_read_b128 a[104:107], v14 offset:6528                   // 000000005F34: DBFE1980 6800000E
	ds_read_b128 a[108:111], v14 offset:7040                   // 000000005F3C: DBFE1B80 6C00000E
	v_mfma_f32_16x16x16_bf16 v[80:83], v[110:111], a[82:83], v[80:83]// 000000005F44: D3E10050 1542A56E
	v_fma_f32 v70, v70, s57, -v146                             // 000000005F4C: D1CB0046 86487346
	v_fma_f32 v71, v71, s57, -v147                             // 000000005F54: D1CB0047 864C7347
	v_fma_f32 v72, v72, s57, -v144                             // 000000005F5C: D1CB0048 86407348
	v_fma_f32 v73, v73, s57, -v145                             // 000000005F64: D1CB0049 86447349
	v_fma_f32 v74, v74, s57, -v146                             // 000000005F6C: D1CB004A 8648734A
	v_fma_f32 v75, v75, s57, -v147                             // 000000005F74: D1CB004B 864C734B
	v_mfma_f32_16x16x16_bf16 v[80:83], v[112:113], a[84:85], v[80:83]// 000000005F7C: D3E10050 1542A970
	v_exp_f32_e32 v52, v52                                     // 000000005F84: 7E684134
	v_exp_f32_e32 v53, v53                                     // 000000005F88: 7E6A4135
	v_mfma_f32_16x16x16_bf16 v[80:83], v[114:115], a[86:87], v[80:83]// 000000005F8C: D3E10050 1542AD72
	v_exp_f32_e32 v54, v54                                     // 000000005F94: 7E6C4136
	v_exp_f32_e32 v55, v55                                     // 000000005F98: 7E6E4137
	v_mfma_f32_16x16x16_bf16 v[84:87], v[108:109], a[88:89], 0 // 000000005F9C: D3E10054 1202B16C
	ds_read_b64 v[156:157], v21 offset:31232                   // 000000005FA4: D8EC7A00 9C000015
	ds_read_b64 v[158:159], v21 offset:33280                   // 000000005FAC: D8EC8200 9E000015
	v_mfma_f32_16x16x16_bf16 v[84:87], v[110:111], a[90:91], v[84:87]// 000000005FB4: D3E10054 1552B56E
	v_exp_f32_e32 v56, v56                                     // 000000005FBC: 7E704138
	v_exp_f32_e32 v57, v57                                     // 000000005FC0: 7E724139
	v_mfma_f32_16x16x16_bf16 v[84:87], v[112:113], a[92:93], v[84:87]// 000000005FC4: D3E10054 1552B970
	ds_read_b64 v[160:161], v21 offset:35328                   // 000000005FCC: D8EC8A00 A0000015
	ds_read_b64 v[162:163], v21 offset:37376                   // 000000005FD4: D8EC9200 A2000015
	v_mfma_f32_16x16x16_bf16 v[84:87], v[114:115], a[94:95], v[84:87]// 000000005FDC: D3E10054 1552BD72
	v_exp_f32_e32 v58, v58                                     // 000000005FE4: 7E74413A
	v_exp_f32_e32 v59, v59                                     // 000000005FE8: 7E76413B
	v_mfma_f32_16x16x16_bf16 v[88:91], v[116:117], a[72:73], 0 // 000000005FEC: D3E10058 12029174
	v_exp_f32_e32 v60, v60                                     // 000000005FF4: 7E78413C
	v_exp_f32_e32 v61, v61                                     // 000000005FF8: 7E7A413D
	v_mfma_f32_16x16x16_bf16 v[88:91], v[118:119], a[74:75], v[88:91]// 000000005FFC: D3E10058 15629576
	v_exp_f32_e32 v62, v62                                     // 000000006004: 7E7C413E
	v_exp_f32_e32 v63, v63                                     // 000000006008: 7E7E413F
	v_mfma_f32_16x16x16_bf16 v[88:91], v[120:121], a[76:77], v[88:91]// 00000000600C: D3E10058 15629978
	v_exp_f32_e32 v64, v64                                     // 000000006014: 7E804140
	v_exp_f32_e32 v65, v65                                     // 000000006018: 7E824141
	v_mfma_f32_16x16x16_bf16 v[88:91], v[122:123], a[78:79], v[88:91]// 00000000601C: D3E10058 15629D7A
	v_exp_f32_e32 v66, v66                                     // 000000006024: 7E844142
	v_exp_f32_e32 v67, v67                                     // 000000006028: 7E864143
	v_mfma_f32_16x16x16_bf16 v[92:95], v[116:117], a[80:81], 0 // 00000000602C: D3E1005C 1202A174
	v_exp_f32_e32 v68, v68                                     // 000000006034: 7E884144
	v_exp_f32_e32 v69, v69                                     // 000000006038: 7E8A4145
	v_mfma_f32_16x16x16_bf16 v[92:95], v[118:119], a[82:83], v[92:95]// 00000000603C: D3E1005C 1572A576
	v_exp_f32_e32 v70, v70                                     // 000000006044: 7E8C4146
	v_exp_f32_e32 v71, v71                                     // 000000006048: 7E8E4147
	v_mfma_f32_16x16x16_bf16 v[92:95], v[120:121], a[84:85], v[92:95]// 00000000604C: D3E1005C 1572A978
	v_exp_f32_e32 v72, v72                                     // 000000006054: 7E904148
	v_exp_f32_e32 v73, v73                                     // 000000006058: 7E924149
	v_mfma_f32_16x16x16_bf16 v[92:95], v[122:123], a[86:87], v[92:95]// 00000000605C: D3E1005C 1572AD7A
	v_exp_f32_e32 v74, v74                                     // 000000006064: 7E94414A
	v_exp_f32_e32 v75, v75                                     // 000000006068: 7E96414B
	v_mfma_f32_16x16x16_bf16 v[96:99], v[116:117], a[88:89], 0 // 00000000606C: D3E10060 1202B174
	v_cmp_u_f32_e64 s[78:79], v52, v52                         // 000000006074: D048004E 00026934
	v_add3_u32 v228, v52, v231, 1                              // 00000000607C: D1FF00E4 0207CF34
	v_cndmask_b32_e64 v32, v228, v230, s[78:79]                // 000000006084: D1000020 013BCDE4
	v_cmp_u_f32_e64 s[78:79], v53, v53                         // 00000000608C: D048004E 00026B35
	v_add3_u32 v228, v53, v231, 1                              // 000000006094: D1FF00E4 0207CF35
	v_cndmask_b32_e64 v33, v228, v230, s[78:79]                // 00000000609C: D1000021 013BCDE4
	v_perm_b32 v164, v33, v32, s64                             // 0000000060A4: D1ED00A4 01024121
	v_cmp_u_f32_e64 s[78:79], v54, v54                         // 0000000060AC: D048004E 00026D36
	v_add3_u32 v228, v54, v231, 1                              // 0000000060B4: D1FF00E4 0207CF36
	v_cndmask_b32_e64 v32, v228, v230, s[78:79]                // 0000000060BC: D1000020 013BCDE4
	v_cmp_u_f32_e64 s[78:79], v55, v55                         // 0000000060C4: D048004E 00026F37
	v_add3_u32 v228, v55, v231, 1                              // 0000000060CC: D1FF00E4 0207CF37
	v_cndmask_b32_e64 v33, v228, v230, s[78:79]                // 0000000060D4: D1000021 013BCDE4
	v_perm_b32 v165, v33, v32, s64                             // 0000000060DC: D1ED00A5 01024121
	v_cmp_u_f32_e64 s[78:79], v56, v56                         // 0000000060E4: D048004E 00027138
	v_add3_u32 v228, v56, v231, 1                              // 0000000060EC: D1FF00E4 0207CF38
	v_cndmask_b32_e64 v32, v228, v230, s[78:79]                // 0000000060F4: D1000020 013BCDE4
	v_cmp_u_f32_e64 s[78:79], v57, v57                         // 0000000060FC: D048004E 00027339
	v_add3_u32 v228, v57, v231, 1                              // 000000006104: D1FF00E4 0207CF39
	v_cndmask_b32_e64 v33, v228, v230, s[78:79]                // 00000000610C: D1000021 013BCDE4
	v_perm_b32 v166, v33, v32, s64                             // 000000006114: D1ED00A6 01024121
	v_cmp_u_f32_e64 s[78:79], v58, v58                         // 00000000611C: D048004E 0002753A
	v_add3_u32 v228, v58, v231, 1                              // 000000006124: D1FF00E4 0207CF3A
	v_cndmask_b32_e64 v32, v228, v230, s[78:79]                // 00000000612C: D1000020 013BCDE4
	v_cmp_u_f32_e64 s[78:79], v59, v59                         // 000000006134: D048004E 0002773B
	v_add3_u32 v228, v59, v231, 1                              // 00000000613C: D1FF00E4 0207CF3B
	v_cndmask_b32_e64 v33, v228, v230, s[78:79]                // 000000006144: D1000021 013BCDE4
	v_perm_b32 v167, v33, v32, s64                             // 00000000614C: D1ED00A7 01024121
	v_cmp_u_f32_e64 s[78:79], v60, v60                         // 000000006154: D048004E 0002793C
	v_add3_u32 v228, v60, v231, 1                              // 00000000615C: D1FF00E4 0207CF3C
	v_cndmask_b32_e64 v32, v228, v230, s[78:79]                // 000000006164: D1000020 013BCDE4
	v_cmp_u_f32_e64 s[78:79], v61, v61                         // 00000000616C: D048004E 00027B3D
	v_add3_u32 v228, v61, v231, 1                              // 000000006174: D1FF00E4 0207CF3D
	v_cndmask_b32_e64 v33, v228, v230, s[78:79]                // 00000000617C: D1000021 013BCDE4
	v_perm_b32 v168, v33, v32, s64                             // 000000006184: D1ED00A8 01024121
	v_cmp_u_f32_e64 s[78:79], v62, v62                         // 00000000618C: D048004E 00027D3E
	v_add3_u32 v228, v62, v231, 1                              // 000000006194: D1FF00E4 0207CF3E
	v_cndmask_b32_e64 v32, v228, v230, s[78:79]                // 00000000619C: D1000020 013BCDE4
	v_cmp_u_f32_e64 s[78:79], v63, v63                         // 0000000061A4: D048004E 00027F3F
	v_add3_u32 v228, v63, v231, 1                              // 0000000061AC: D1FF00E4 0207CF3F
	v_cndmask_b32_e64 v33, v228, v230, s[78:79]                // 0000000061B4: D1000021 013BCDE4
	v_perm_b32 v169, v33, v32, s64                             // 0000000061BC: D1ED00A9 01024121
	v_mfma_f32_16x16x16_bf16 v[96:99], v[118:119], a[90:91], v[96:99]// 0000000061C4: D3E10060 1582B576
	v_cmp_u_f32_e64 s[78:79], v64, v64                         // 0000000061CC: D048004E 00028140
	v_add3_u32 v228, v64, v231, 1                              // 0000000061D4: D1FF00E4 0207CF40
	v_cndmask_b32_e64 v32, v228, v230, s[78:79]                // 0000000061DC: D1000020 013BCDE4
	v_cmp_u_f32_e64 s[78:79], v65, v65                         // 0000000061E4: D048004E 00028341
	v_add3_u32 v228, v65, v231, 1                              // 0000000061EC: D1FF00E4 0207CF41
	v_cndmask_b32_e64 v33, v228, v230, s[78:79]                // 0000000061F4: D1000021 013BCDE4
	v_perm_b32 v170, v33, v32, s64                             // 0000000061FC: D1ED00AA 01024121
	v_cmp_u_f32_e64 s[78:79], v66, v66                         // 000000006204: D048004E 00028542
	v_add3_u32 v228, v66, v231, 1                              // 00000000620C: D1FF00E4 0207CF42
	v_cndmask_b32_e64 v32, v228, v230, s[78:79]                // 000000006214: D1000020 013BCDE4
	v_cmp_u_f32_e64 s[78:79], v67, v67                         // 00000000621C: D048004E 00028743
	v_add3_u32 v228, v67, v231, 1                              // 000000006224: D1FF00E4 0207CF43
	v_cndmask_b32_e64 v33, v228, v230, s[78:79]                // 00000000622C: D1000021 013BCDE4
	v_perm_b32 v171, v33, v32, s64                             // 000000006234: D1ED00AB 01024121
	v_cmp_u_f32_e64 s[78:79], v68, v68                         // 00000000623C: D048004E 00028944
	v_add3_u32 v228, v68, v231, 1                              // 000000006244: D1FF00E4 0207CF44
	v_cndmask_b32_e64 v32, v228, v230, s[78:79]                // 00000000624C: D1000020 013BCDE4
	v_cmp_u_f32_e64 s[78:79], v69, v69                         // 000000006254: D048004E 00028B45
	v_add3_u32 v228, v69, v231, 1                              // 00000000625C: D1FF00E4 0207CF45
	v_cndmask_b32_e64 v33, v228, v230, s[78:79]                // 000000006264: D1000021 013BCDE4
	v_perm_b32 v172, v33, v32, s64                             // 00000000626C: D1ED00AC 01024121
	v_cmp_u_f32_e64 s[78:79], v70, v70                         // 000000006274: D048004E 00028D46
	v_add3_u32 v228, v70, v231, 1                              // 00000000627C: D1FF00E4 0207CF46
	v_cndmask_b32_e64 v32, v228, v230, s[78:79]                // 000000006284: D1000020 013BCDE4
	v_cmp_u_f32_e64 s[78:79], v71, v71                         // 00000000628C: D048004E 00028F47
	v_add3_u32 v228, v71, v231, 1                              // 000000006294: D1FF00E4 0207CF47
	v_cndmask_b32_e64 v33, v228, v230, s[78:79]                // 00000000629C: D1000021 013BCDE4
	v_perm_b32 v173, v33, v32, s64                             // 0000000062A4: D1ED00AD 01024121
	v_cmp_u_f32_e64 s[78:79], v72, v72                         // 0000000062AC: D048004E 00029148
	v_add3_u32 v228, v72, v231, 1                              // 0000000062B4: D1FF00E4 0207CF48
	v_cndmask_b32_e64 v32, v228, v230, s[78:79]                // 0000000062BC: D1000020 013BCDE4
	v_cmp_u_f32_e64 s[78:79], v73, v73                         // 0000000062C4: D048004E 00029349
	v_add3_u32 v228, v73, v231, 1                              // 0000000062CC: D1FF00E4 0207CF49
	v_cndmask_b32_e64 v33, v228, v230, s[78:79]                // 0000000062D4: D1000021 013BCDE4
	v_perm_b32 v174, v33, v32, s64                             // 0000000062DC: D1ED00AE 01024121
	v_cmp_u_f32_e64 s[78:79], v74, v74                         // 0000000062E4: D048004E 0002954A
	v_add3_u32 v228, v74, v231, 1                              // 0000000062EC: D1FF00E4 0207CF4A
	v_cndmask_b32_e64 v32, v228, v230, s[78:79]                // 0000000062F4: D1000020 013BCDE4
	v_cmp_u_f32_e64 s[78:79], v75, v75                         // 0000000062FC: D048004E 0002974B
	v_add3_u32 v228, v75, v231, 1                              // 000000006304: D1FF00E4 0207CF4B
	v_cndmask_b32_e64 v33, v228, v230, s[78:79]                // 00000000630C: D1000021 013BCDE4
	v_perm_b32 v175, v33, v32, s64                             // 000000006314: D1ED00AF 01024121
	v_mfma_f32_16x16x16_bf16 v[96:99], v[120:121], a[92:93], v[96:99]// 00000000631C: D3E10060 1582B978
	v_add_u32_e32 v6, s66, v6                                  // 000000006324: 680C0C42
	v_add_u32_e32 v7, s66, v7                                  // 000000006328: 680E0E42
	v_add_u32_e32 v8, s66, v8                                  // 00000000632C: 68101042
	v_add_u32_e32 v9, s66, v9                                  // 000000006330: 68121242
	v_mfma_f32_16x16x16_bf16 v[96:99], v[122:123], a[94:95], v[96:99]// 000000006334: D3E10060 1582BD7A
	s_waitcnt lgkmcnt(0)                                       // 00000000633C: BF8CC07F
	s_barrier                                                  // 000000006340: BF8A0000
	v_mfma_f32_16x16x16_bf16 v[180:183], v[124:125], v[164:165], v[180:183]// 000000006344: D3E100B4 06D3497C
	v_subrev_f32_dpp v76, v176, v76 quad_perm:[0,0,0,0] row_mask:0xf bank_mask:0xf// 00000000634C: 069898FA FF0000B0
	v_subrev_f32_dpp v77, v176, v77 quad_perm:[1,1,1,1] row_mask:0xf bank_mask:0xf// 000000006354: 069A9AFA FF0055B0
	v_subrev_f32_dpp v78, v176, v78 quad_perm:[2,2,2,2] row_mask:0xf bank_mask:0xf// 00000000635C: 069C9CFA FF00AAB0
	v_subrev_f32_dpp v79, v176, v79 quad_perm:[3,3,3,3] row_mask:0xf bank_mask:0xf// 000000006364: 069E9EFA FF00FFB0
	v_subrev_f32_dpp v80, v176, v80 quad_perm:[0,0,0,0] row_mask:0xf bank_mask:0xf// 00000000636C: 06A0A0FA FF0000B0
	v_subrev_f32_dpp v81, v176, v81 quad_perm:[1,1,1,1] row_mask:0xf bank_mask:0xf// 000000006374: 06A2A2FA FF0055B0
	v_mfma_f32_16x16x16_bf16 v[184:187], v[126:127], v[164:165], v[184:187]// 00000000637C: D3E100B8 06E3497E
	v_subrev_f32_dpp v82, v176, v82 quad_perm:[2,2,2,2] row_mask:0xf bank_mask:0xf// 000000006384: 06A4A4FA FF00AAB0
	v_subrev_f32_dpp v83, v176, v83 quad_perm:[3,3,3,3] row_mask:0xf bank_mask:0xf// 00000000638C: 06A6A6FA FF00FFB0
	v_subrev_f32_dpp v84, v176, v84 quad_perm:[0,0,0,0] row_mask:0xf bank_mask:0xf// 000000006394: 06A8A8FA FF0000B0
	v_subrev_f32_dpp v85, v176, v85 quad_perm:[1,1,1,1] row_mask:0xf bank_mask:0xf// 00000000639C: 06AAAAFA FF0055B0
	v_subrev_f32_dpp v86, v176, v86 quad_perm:[2,2,2,2] row_mask:0xf bank_mask:0xf// 0000000063A4: 06ACACFA FF00AAB0
	v_subrev_f32_dpp v87, v176, v87 quad_perm:[3,3,3,3] row_mask:0xf bank_mask:0xf// 0000000063AC: 06AEAEFA FF00FFB0
	v_mfma_f32_16x16x16_bf16 v[188:191], v[128:129], v[164:165], v[188:191]// 0000000063B4: D3E100BC 06F34980
	v_mul_f32_e32 v76, v52, v76                                // 0000000063BC: 0A989934
	v_mul_f32_e32 v77, v53, v77                                // 0000000063C0: 0A9A9B35
	v_mul_f32_e32 v78, v54, v78                                // 0000000063C4: 0A9C9D36
	v_mul_f32_e32 v79, v55, v79                                // 0000000063C8: 0A9E9F37
	v_mul_f32_e32 v80, v56, v80                                // 0000000063CC: 0AA0A138
	v_mul_f32_e32 v81, v57, v81                                // 0000000063D0: 0AA2A339
	v_mfma_f32_16x16x16_bf16 v[192:195], v[130:131], v[164:165], v[192:195]// 0000000063D4: D3E100C0 07034982
	v_mul_f32_e32 v82, v58, v82                                // 0000000063DC: 0AA4A53A
	v_mul_f32_e32 v83, v59, v83                                // 0000000063E0: 0AA6A73B
	v_mul_f32_e32 v84, v60, v84                                // 0000000063E4: 0AA8A93C
	v_mul_f32_e32 v85, v61, v85                                // 0000000063E8: 0AAAAB3D
	v_mul_f32_e32 v86, v62, v86                                // 0000000063EC: 0AACAD3E
	v_mul_f32_e32 v87, v63, v87                                // 0000000063F0: 0AAEAF3F
	v_mfma_f32_16x16x16_bf16 v[196:199], v[124:125], v[166:167], v[196:199]// 0000000063F4: D3E100C4 07134D7C
	v_cmp_u_f32_e64 s[78:79], v76, v76                         // 0000000063FC: D048004E 0002994C
	v_add3_u32 v228, v76, v231, 1                              // 000000006404: D1FF00E4 0207CF4C
	v_cndmask_b32_e64 v32, v228, v230, s[78:79]                // 00000000640C: D1000020 013BCDE4
	v_cmp_u_f32_e64 s[78:79], v77, v77                         // 000000006414: D048004E 00029B4D
	v_add3_u32 v228, v77, v231, 1                              // 00000000641C: D1FF00E4 0207CF4D
	v_cndmask_b32_e64 v33, v228, v230, s[78:79]                // 000000006424: D1000021 013BCDE4
	v_perm_b32 v76, v33, v32, s64                              // 00000000642C: D1ED004C 01024121
	v_cmp_u_f32_e64 s[78:79], v78, v78                         // 000000006434: D048004E 00029D4E
	v_add3_u32 v228, v78, v231, 1                              // 00000000643C: D1FF00E4 0207CF4E
	v_cndmask_b32_e64 v32, v228, v230, s[78:79]                // 000000006444: D1000020 013BCDE4
	v_cmp_u_f32_e64 s[78:79], v79, v79                         // 00000000644C: D048004E 00029F4F
	v_add3_u32 v228, v79, v231, 1                              // 000000006454: D1FF00E4 0207CF4F
	v_cndmask_b32_e64 v33, v228, v230, s[78:79]                // 00000000645C: D1000021 013BCDE4
	v_perm_b32 v77, v33, v32, s64                              // 000000006464: D1ED004D 01024121
	v_cmp_u_f32_e64 s[78:79], v80, v80                         // 00000000646C: D048004E 0002A150
	v_add3_u32 v228, v80, v231, 1                              // 000000006474: D1FF00E4 0207CF50
	v_cndmask_b32_e64 v32, v228, v230, s[78:79]                // 00000000647C: D1000020 013BCDE4
	v_cmp_u_f32_e64 s[78:79], v81, v81                         // 000000006484: D048004E 0002A351
	v_add3_u32 v228, v81, v231, 1                              // 00000000648C: D1FF00E4 0207CF51
	v_cndmask_b32_e64 v33, v228, v230, s[78:79]                // 000000006494: D1000021 013BCDE4
	v_perm_b32 v78, v33, v32, s64                              // 00000000649C: D1ED004E 01024121
	v_cmp_u_f32_e64 s[78:79], v82, v82                         // 0000000064A4: D048004E 0002A552
	v_add3_u32 v228, v82, v231, 1                              // 0000000064AC: D1FF00E4 0207CF52
	v_cndmask_b32_e64 v32, v228, v230, s[78:79]                // 0000000064B4: D1000020 013BCDE4
	v_cmp_u_f32_e64 s[78:79], v83, v83                         // 0000000064BC: D048004E 0002A753
	v_add3_u32 v228, v83, v231, 1                              // 0000000064C4: D1FF00E4 0207CF53
	v_cndmask_b32_e64 v33, v228, v230, s[78:79]                // 0000000064CC: D1000021 013BCDE4
	v_perm_b32 v79, v33, v32, s64                              // 0000000064D4: D1ED004F 01024121
	v_cmp_u_f32_e64 s[78:79], v84, v84                         // 0000000064DC: D048004E 0002A954
	v_add3_u32 v228, v84, v231, 1                              // 0000000064E4: D1FF00E4 0207CF54
	v_cndmask_b32_e64 v32, v228, v230, s[78:79]                // 0000000064EC: D1000020 013BCDE4
	v_cmp_u_f32_e64 s[78:79], v85, v85                         // 0000000064F4: D048004E 0002AB55
	v_add3_u32 v228, v85, v231, 1                              // 0000000064FC: D1FF00E4 0207CF55
	v_cndmask_b32_e64 v33, v228, v230, s[78:79]                // 000000006504: D1000021 013BCDE4
	v_perm_b32 v80, v33, v32, s64                              // 00000000650C: D1ED0050 01024121
	v_cmp_u_f32_e64 s[78:79], v86, v86                         // 000000006514: D048004E 0002AD56
	v_add3_u32 v228, v86, v231, 1                              // 00000000651C: D1FF00E4 0207CF56
	v_cndmask_b32_e64 v32, v228, v230, s[78:79]                // 000000006524: D1000020 013BCDE4
	v_cmp_u_f32_e64 s[78:79], v87, v87                         // 00000000652C: D048004E 0002AF57
	v_add3_u32 v228, v87, v231, 1                              // 000000006534: D1FF00E4 0207CF57
	v_cndmask_b32_e64 v33, v228, v230, s[78:79]                // 00000000653C: D1000021 013BCDE4
	v_perm_b32 v81, v33, v32, s64                              // 000000006544: D1ED0051 01024121
	v_mfma_f32_16x16x16_bf16 v[200:203], v[126:127], v[166:167], v[200:203]// 00000000654C: D3E100C8 07234D7E
	v_mov_b32_dpp v18, v76 quad_perm:[1,0,3,2] row_mask:0xf bank_mask:0xf// 000000006554: 7E2402FA FF00B14C
	v_perm_b32 v52, v18, v76, v17                              // 00000000655C: D1ED0034 04469912
	v_mov_b32_dpp v18, v77 quad_perm:[1,0,3,2] row_mask:0xf bank_mask:0xf// 000000006564: 7E2402FA FF00B14D
	v_perm_b32 v53, v18, v77, v17                              // 00000000656C: D1ED0035 04469B12
	v_mov_b32_dpp v18, v78 quad_perm:[1,0,3,2] row_mask:0xf bank_mask:0xf// 000000006574: 7E2402FA FF00B14E
	v_perm_b32 v54, v18, v78, v17                              // 00000000657C: D1ED0036 04469D12
	v_mfma_f32_16x16x16_bf16 v[204:207], v[128:129], v[166:167], v[204:207]// 000000006584: D3E100CC 07334D80
	v_mov_b32_dpp v18, v79 quad_perm:[1,0,3,2] row_mask:0xf bank_mask:0xf// 00000000658C: 7E2402FA FF00B14F
	v_perm_b32 v55, v18, v79, v17                              // 000000006594: D1ED0037 04469F12
	v_mov_b32_dpp v18, v80 quad_perm:[1,0,3,2] row_mask:0xf bank_mask:0xf// 00000000659C: 7E2402FA FF00B150
	v_perm_b32 v56, v18, v80, v17                              // 0000000065A4: D1ED0038 0446A112
	v_mov_b32_dpp v18, v81 quad_perm:[1,0,3,2] row_mask:0xf bank_mask:0xf// 0000000065AC: 7E2402FA FF00B151
	v_perm_b32 v57, v18, v81, v17                              // 0000000065B4: D1ED0039 0446A312
	v_mfma_f32_16x16x16_bf16 v[208:211], v[130:131], v[166:167], v[208:211]// 0000000065BC: D3E100D0 07434D82
	ds_write_b32 v20, v52 offset:17408                         // 0000000065C4: D81A4400 00003414
	ds_write_b32 v20, v53 offset:17952                         // 0000000065CC: D81A4620 00003514
	v_mfma_f32_16x16x16_bf16 v[212:215], v[124:125], v[168:169], v[212:215]// 0000000065D4: D3E100D4 0753517C
	v_subrev_f32_dpp v88, v177, v88 quad_perm:[0,0,0,0] row_mask:0xf bank_mask:0xf// 0000000065DC: 06B0B0FA FF0000B1
	v_subrev_f32_dpp v89, v177, v89 quad_perm:[1,1,1,1] row_mask:0xf bank_mask:0xf// 0000000065E4: 06B2B2FA FF0055B1
	v_subrev_f32_dpp v90, v177, v90 quad_perm:[2,2,2,2] row_mask:0xf bank_mask:0xf// 0000000065EC: 06B4B4FA FF00AAB1
	v_subrev_f32_dpp v91, v177, v91 quad_perm:[3,3,3,3] row_mask:0xf bank_mask:0xf// 0000000065F4: 06B6B6FA FF00FFB1
	v_subrev_f32_dpp v92, v177, v92 quad_perm:[0,0,0,0] row_mask:0xf bank_mask:0xf// 0000000065FC: 06B8B8FA FF0000B1
	v_subrev_f32_dpp v93, v177, v93 quad_perm:[1,1,1,1] row_mask:0xf bank_mask:0xf// 000000006604: 06BABAFA FF0055B1
	v_mfma_f32_16x16x16_bf16 v[216:219], v[126:127], v[168:169], v[216:219]// 00000000660C: D3E100D8 0763517E
	ds_write_b32 v20, v54 offset:19712                         // 000000006614: D81A4D00 00003614
	ds_write_b32 v20, v55 offset:20256                         // 00000000661C: D81A4F20 00003714
	v_mfma_f32_16x16x16_bf16 v[220:223], v[128:129], v[168:169], v[220:223]// 000000006624: D3E100DC 07735180
	v_subrev_f32_dpp v94, v177, v94 quad_perm:[2,2,2,2] row_mask:0xf bank_mask:0xf// 00000000662C: 06BCBCFA FF00AAB1
	v_subrev_f32_dpp v95, v177, v95 quad_perm:[3,3,3,3] row_mask:0xf bank_mask:0xf// 000000006634: 06BEBEFA FF00FFB1
	v_subrev_f32_dpp v96, v177, v96 quad_perm:[0,0,0,0] row_mask:0xf bank_mask:0xf// 00000000663C: 06C0C0FA FF0000B1
	v_subrev_f32_dpp v97, v177, v97 quad_perm:[1,1,1,1] row_mask:0xf bank_mask:0xf// 000000006644: 06C2C2FA FF0055B1
	v_subrev_f32_dpp v98, v177, v98 quad_perm:[2,2,2,2] row_mask:0xf bank_mask:0xf// 00000000664C: 06C4C4FA FF00AAB1
	v_subrev_f32_dpp v99, v177, v99 quad_perm:[3,3,3,3] row_mask:0xf bank_mask:0xf// 000000006654: 06C6C6FA FF00FFB1
	v_mfma_f32_16x16x16_bf16 v[224:227], v[130:131], v[168:169], v[224:227]// 00000000665C: D3E100E0 07835182
	ds_write_b32 v20, v56 offset:22016                         // 000000006664: D81A5600 00003814
	ds_write_b32 v20, v57 offset:22560                         // 00000000666C: D81A5820 00003914
	v_mfma_f32_16x16x16_bf16 v[180:183], v[132:133], v[170:171], v[180:183]// 000000006674: D3E100B4 06D35584
	v_mul_f32_e32 v88, v64, v88                                // 00000000667C: 0AB0B140
	v_mul_f32_e32 v89, v65, v89                                // 000000006680: 0AB2B341
	v_mul_f32_e32 v90, v66, v90                                // 000000006684: 0AB4B542
	v_mul_f32_e32 v91, v67, v91                                // 000000006688: 0AB6B743
	v_mul_f32_e32 v92, v68, v92                                // 00000000668C: 0AB8B944
	v_mul_f32_e32 v93, v69, v93                                // 000000006690: 0ABABB45
	v_mfma_f32_16x16x16_bf16 v[184:187], v[134:135], v[170:171], v[184:187]// 000000006694: D3E100B8 06E35586
	v_mul_f32_e32 v94, v70, v94                                // 00000000669C: 0ABCBD46
	v_mul_f32_e32 v95, v71, v95                                // 0000000066A0: 0ABEBF47
	v_mul_f32_e32 v96, v72, v96                                // 0000000066A4: 0AC0C148
	v_mul_f32_e32 v97, v73, v97                                // 0000000066A8: 0AC2C349
	v_mul_f32_e32 v98, v74, v98                                // 0000000066AC: 0AC4C54A
	v_mul_f32_e32 v99, v75, v99                                // 0000000066B0: 0AC6C74B
	v_mfma_f32_16x16x16_bf16 v[188:191], v[136:137], v[170:171], v[188:191]// 0000000066B4: D3E100BC 06F35588
	v_cmp_u_f32_e64 s[78:79], v88, v88                         // 0000000066BC: D048004E 0002B158
	v_add3_u32 v228, v88, v231, 1                              // 0000000066C4: D1FF00E4 0207CF58
	v_cndmask_b32_e64 v32, v228, v230, s[78:79]                // 0000000066CC: D1000020 013BCDE4
	v_cmp_u_f32_e64 s[78:79], v89, v89                         // 0000000066D4: D048004E 0002B359
	v_add3_u32 v228, v89, v231, 1                              // 0000000066DC: D1FF00E4 0207CF59
	v_cndmask_b32_e64 v33, v228, v230, s[78:79]                // 0000000066E4: D1000021 013BCDE4
	v_perm_b32 v82, v33, v32, s64                              // 0000000066EC: D1ED0052 01024121
	v_cmp_u_f32_e64 s[78:79], v90, v90                         // 0000000066F4: D048004E 0002B55A
	v_add3_u32 v228, v90, v231, 1                              // 0000000066FC: D1FF00E4 0207CF5A
	v_cndmask_b32_e64 v32, v228, v230, s[78:79]                // 000000006704: D1000020 013BCDE4
	v_cmp_u_f32_e64 s[78:79], v91, v91                         // 00000000670C: D048004E 0002B75B
	v_add3_u32 v228, v91, v231, 1                              // 000000006714: D1FF00E4 0207CF5B
	v_cndmask_b32_e64 v33, v228, v230, s[78:79]                // 00000000671C: D1000021 013BCDE4
	v_perm_b32 v83, v33, v32, s64                              // 000000006724: D1ED0053 01024121
	v_cmp_u_f32_e64 s[78:79], v92, v92                         // 00000000672C: D048004E 0002B95C
	v_add3_u32 v228, v92, v231, 1                              // 000000006734: D1FF00E4 0207CF5C
	v_cndmask_b32_e64 v32, v228, v230, s[78:79]                // 00000000673C: D1000020 013BCDE4
	v_cmp_u_f32_e64 s[78:79], v93, v93                         // 000000006744: D048004E 0002BB5D
	v_add3_u32 v228, v93, v231, 1                              // 00000000674C: D1FF00E4 0207CF5D
	v_cndmask_b32_e64 v33, v228, v230, s[78:79]                // 000000006754: D1000021 013BCDE4
	v_perm_b32 v84, v33, v32, s64                              // 00000000675C: D1ED0054 01024121
	v_cmp_u_f32_e64 s[78:79], v94, v94                         // 000000006764: D048004E 0002BD5E
	v_add3_u32 v228, v94, v231, 1                              // 00000000676C: D1FF00E4 0207CF5E
	v_cndmask_b32_e64 v32, v228, v230, s[78:79]                // 000000006774: D1000020 013BCDE4
	v_cmp_u_f32_e64 s[78:79], v95, v95                         // 00000000677C: D048004E 0002BF5F
	v_add3_u32 v228, v95, v231, 1                              // 000000006784: D1FF00E4 0207CF5F
	v_cndmask_b32_e64 v33, v228, v230, s[78:79]                // 00000000678C: D1000021 013BCDE4
	v_perm_b32 v85, v33, v32, s64                              // 000000006794: D1ED0055 01024121
	v_cmp_u_f32_e64 s[78:79], v96, v96                         // 00000000679C: D048004E 0002C160
	v_add3_u32 v228, v96, v231, 1                              // 0000000067A4: D1FF00E4 0207CF60
	v_cndmask_b32_e64 v32, v228, v230, s[78:79]                // 0000000067AC: D1000020 013BCDE4
	v_cmp_u_f32_e64 s[78:79], v97, v97                         // 0000000067B4: D048004E 0002C361
	v_add3_u32 v228, v97, v231, 1                              // 0000000067BC: D1FF00E4 0207CF61
	v_cndmask_b32_e64 v33, v228, v230, s[78:79]                // 0000000067C4: D1000021 013BCDE4
	v_perm_b32 v86, v33, v32, s64                              // 0000000067CC: D1ED0056 01024121
	v_cmp_u_f32_e64 s[78:79], v98, v98                         // 0000000067D4: D048004E 0002C562
	v_add3_u32 v228, v98, v231, 1                              // 0000000067DC: D1FF00E4 0207CF62
	v_cndmask_b32_e64 v32, v228, v230, s[78:79]                // 0000000067E4: D1000020 013BCDE4
	v_cmp_u_f32_e64 s[78:79], v99, v99                         // 0000000067EC: D048004E 0002C763
	v_add3_u32 v228, v99, v231, 1                              // 0000000067F4: D1FF00E4 0207CF63
	v_cndmask_b32_e64 v33, v228, v230, s[78:79]                // 0000000067FC: D1000021 013BCDE4
	v_perm_b32 v87, v33, v32, s64                              // 000000006804: D1ED0057 01024121
	v_mfma_f32_16x16x16_bf16 v[192:195], v[138:139], v[170:171], v[192:195]// 00000000680C: D3E100C0 0703558A
	v_mov_b32_dpp v18, v82 quad_perm:[1,0,3,2] row_mask:0xf bank_mask:0xf// 000000006814: 7E2402FA FF00B152
	v_perm_b32 v58, v18, v82, v17                              // 00000000681C: D1ED003A 0446A512
	v_mov_b32_dpp v18, v83 quad_perm:[1,0,3,2] row_mask:0xf bank_mask:0xf// 000000006824: 7E2402FA FF00B153
	v_perm_b32 v59, v18, v83, v17                              // 00000000682C: D1ED003B 0446A712
	v_mov_b32_dpp v18, v84 quad_perm:[1,0,3,2] row_mask:0xf bank_mask:0xf// 000000006834: 7E2402FA FF00B154
	v_perm_b32 v60, v18, v84, v17                              // 00000000683C: D1ED003C 0446A912
	v_mfma_f32_16x16x16_bf16 v[196:199], v[132:133], v[172:173], v[196:199]// 000000006844: D3E100C4 07135984
	v_mov_b32_dpp v18, v85 quad_perm:[1,0,3,2] row_mask:0xf bank_mask:0xf// 00000000684C: 7E2402FA FF00B155
	v_perm_b32 v61, v18, v85, v17                              // 000000006854: D1ED003D 0446AB12
	v_mov_b32_dpp v18, v86 quad_perm:[1,0,3,2] row_mask:0xf bank_mask:0xf// 00000000685C: 7E2402FA FF00B156
	v_perm_b32 v62, v18, v86, v17                              // 000000006864: D1ED003E 0446AD12
	v_mov_b32_dpp v18, v87 quad_perm:[1,0,3,2] row_mask:0xf bank_mask:0xf// 00000000686C: 7E2402FA FF00B157
	v_perm_b32 v63, v18, v87, v17                              // 000000006874: D1ED003F 0446AF12
	v_mfma_f32_16x16x16_bf16 v[200:203], v[134:135], v[172:173], v[200:203]// 00000000687C: D3E100C8 07235986
	ds_write_b32 v20, v58 offset:24320                         // 000000006884: D81A5F00 00003A14
	ds_write_b32 v20, v59 offset:24864                         // 00000000688C: D81A6120 00003B14
	v_mfma_f32_16x16x16_bf16 v[204:207], v[136:137], v[172:173], v[204:207]// 000000006894: D3E100CC 07335988
	v_mfma_f32_16x16x16_bf16 v[208:211], v[138:139], v[172:173], v[208:211]// 00000000689C: D3E100D0 0743598A
	ds_write_b32 v20, v60 offset:26624                         // 0000000068A4: D81A6800 00003C14
	ds_write_b32 v20, v61 offset:27168                         // 0000000068AC: D81A6A20 00003D14
	ds_write_b32 v20, v62 offset:28928                         // 0000000068B4: D81A7100 00003E14
	ds_write_b32 v20, v63 offset:29472                         // 0000000068BC: D81A7320 00003F14
	v_mfma_f32_16x16x16_bf16 v[212:215], v[132:133], v[174:175], v[212:215]// 0000000068C4: D3E100D4 07535D84
	v_mfma_f32_16x16x16_bf16 v[216:219], v[134:135], v[174:175], v[216:219]// 0000000068CC: D3E100D8 07635D86
	ds_write_b32 v15, v100 offset:4352                         // 0000000068D4: D81A1100 0000640F
	ds_write_b32 v15, v101 offset:5408                         // 0000000068DC: D81A1520 0000650F
	v_mfma_f32_16x16x16_bf16 v[220:223], v[136:137], v[174:175], v[220:223]// 0000000068E4: D3E100DC 07735D88
	s_nop 0                                                    // 0000000068EC: BF800000
	s_nop 0                                                    // 0000000068F0: BF800000
	s_nop 0                                                    // 0000000068F4: BF800000
	v_mfma_f32_16x16x16_bf16 v[224:227], v[138:139], v[174:175], v[224:227]// 0000000068F8: D3E100E0 07835D8A
	ds_write_b32 v15, v102 offset:6528                         // 000000006900: D81A1980 0000660F
	ds_write_b32 v15, v103 offset:7584                         // 000000006908: D81A1DA0 0000670F
	s_barrier                                                  // 000000006910: BF8A0000
	v_mfma_f32_16x16x16_bf16 a[112:115], a[96:97], v[76:77], a[112:115]// 000000006914: D3E18070 0DC29960
	buffer_atomic_add_f32 v156, v6, s[32:35], 0 idxen          // 00000000691C: E1342000 80089C06
	v_mfma_f32_16x16x16_bf16 a[116:119], a[98:99], v[76:77], a[116:119]// 000000006924: D3E18074 0DD29962
	ds_read_b32 v140, v23 offset:39936                         // 00000000692C: D86C9C00 8C000017
	ds_read_b32 v144, v23 offset:40000                         // 000000006934: D86C9C40 90000017
	ds_read_b32 v176, v23 offset:40192                         // 00000000693C: D86C9D00 B0000017
	ds_read_b32 v177, v23 offset:40256                         // 000000006944: D86C9D40 B1000017
	v_mfma_f32_16x16x16_bf16 a[120:123], a[100:101], v[76:77], a[120:123]// 00000000694C: D3E18078 0DE29964
	s_waitcnt lgkmcnt(8)                                       // 000000006954: BF8CC87F
	s_barrier                                                  // 000000006958: BF8A0000
	v_mfma_f32_16x16x16_bf16 a[124:127], a[102:103], v[76:77], a[124:127]// 00000000695C: D3E1807C 0DF29966
	ds_read_b128 v[52:55], v19 offset:17408                    // 000000006964: D9FE4400 34000013
	v_mfma_f32_16x16x16_bf16 a[128:131], a[96:97], v[78:79], a[128:131]// 00000000696C: D3E18080 0E029D60
	v_mfma_f32_16x16x16_bf16 a[132:135], a[98:99], v[78:79], a[132:135]// 000000006974: D3E18084 0E129D62
	ds_read_b128 v[56:59], v19 offset:18560                    // 00000000697C: D9FE4880 38000013
	v_mfma_f32_16x16x16_bf16 a[136:139], a[100:101], v[78:79], a[136:139]// 000000006984: D3E18088 0E229D64
	buffer_atomic_add_f32 v157, v7, s[32:35], 0 idxen          // 00000000698C: E1342000 80089D07
	v_mfma_f32_16x16x16_bf16 a[140:143], a[102:103], v[78:79], a[140:143]// 000000006994: D3E1808C 0E329D66
	ds_read_b128 v[60:63], v19 offset:19712                    // 00000000699C: D9FE4D00 3C000013
	v_mfma_f32_16x16x16_bf16 a[144:147], a[96:97], v[80:81], a[144:147]// 0000000069A4: D3E18090 0E42A160
	v_mfma_f32_16x16x16_bf16 a[148:151], a[98:99], v[80:81], a[148:151]// 0000000069AC: D3E18094 0E52A162
	ds_read_b128 v[64:67], v19 offset:20864                    // 0000000069B4: D9FE5180 40000013
	v_mfma_f32_16x16x16_bf16 a[152:155], a[100:101], v[80:81], a[152:155]// 0000000069BC: D3E18098 0E62A164
	v_mfma_f32_16x16x16_bf16 a[156:159], a[102:103], v[80:81], a[156:159]// 0000000069C4: D3E1809C 0E72A166
	ds_read_b128 v[68:71], v19 offset:22016                    // 0000000069CC: D9FE5600 44000013
	v_mfma_f32_16x16x16_bf16 a[112:115], a[104:105], v[82:83], a[112:115]// 0000000069D4: D3E18070 0DC2A568
	buffer_atomic_add_f32 v158, v6, s[32:35], 0 idxen offset:128// 0000000069DC: E1342080 80089E06
	v_mfma_f32_16x16x16_bf16 a[116:119], a[106:107], v[82:83], a[116:119]// 0000000069E4: D3E18074 0DD2A56A
	ds_read_b128 v[72:75], v19 offset:23168                    // 0000000069EC: D9FE5A80 48000013
	v_mfma_f32_16x16x16_bf16 a[120:123], a[108:109], v[82:83], a[120:123]// 0000000069F4: D3E18078 0DE2A56C
	v_mfma_f32_16x16x16_bf16 a[124:127], a[110:111], v[82:83], a[124:127]// 0000000069FC: D3E1807C 0DF2A56E
	ds_write_b32 v15, v104 offset:13056                        // 000000006A04: D81A3300 0000680F
	v_mfma_f32_16x16x16_bf16 a[128:131], a[104:105], v[84:85], a[128:131]// 000000006A0C: D3E18080 0E02A968
	v_mfma_f32_16x16x16_bf16 a[132:135], a[106:107], v[84:85], a[132:135]// 000000006A14: D3E18084 0E12A96A
	ds_write_b32 v15, v105 offset:14112                        // 000000006A1C: D81A3720 0000690F
	v_mfma_f32_16x16x16_bf16 a[136:139], a[108:109], v[84:85], a[136:139]// 000000006A24: D3E18088 0E22A96C
	buffer_atomic_add_f32 v159, v7, s[32:35], 0 idxen offset:128// 000000006A2C: E1342080 80089F07
	v_mfma_f32_16x16x16_bf16 a[140:143], a[110:111], v[84:85], a[140:143]// 000000006A34: D3E1808C 0E32A96E
	ds_write_b32 v15, v106 offset:15232                        // 000000006A3C: D81A3B80 00006A0F
	v_mfma_f32_16x16x16_bf16 a[144:147], a[104:105], v[86:87], a[144:147]// 000000006A44: D3E18090 0E42AD68
	v_mfma_f32_16x16x16_bf16 a[148:151], a[106:107], v[86:87], a[148:151]// 000000006A4C: D3E18094 0E52AD6A
	ds_write_b32 v15, v107 offset:16288                        // 000000006A54: D81A3FA0 00006B0F
	v_mfma_f32_16x16x16_bf16 a[152:155], a[108:109], v[86:87], a[152:155]// 000000006A5C: D3E18098 0E62AD6C
	v_mfma_f32_16x16x16_bf16 a[156:159], a[110:111], v[86:87], a[156:159]// 000000006A64: D3E1809C 0E72AD6E
	s_waitcnt vmcnt(8) lgkmcnt(4)                              // 000000006A6C: BF8C0478
	s_barrier                                                  // 000000006A70: BF8A0000
	v_mfma_f32_16x16x16_bf16 v[148:151], v[52:53], a[24:25], 0 // 000000006A74: D3E10094 12023134
	v_mul_f32_e32 v140, s48, v140                              // 000000006A7C: 0B191830
	v_mul_f32_e32 v144, s48, v144                              // 000000006A80: 0B212030
	s_nop 0                                                    // 000000006A84: BF800000
	v_mfma_f32_16x16x16_bf16 v[148:151], v[54:55], a[28:29], v[148:151]// 000000006A88: D3E10094 16523936
	ds_read_b128 a[96:99], v12                                 // 000000006A90: DBFE0000 6000000C
	buffer_load_dword v40, v1, s[8:11], 0 idxen                // 000000006A98: E0502000 80022801
	v_mfma_f32_16x16x16_bf16 v[148:151], v[56:57], a[32:33], v[148:151]// 000000006AA0: D3E10094 16524138
	v_mfma_f32_16x16x16_bf16 v[148:151], v[58:59], a[36:37], v[148:151]// 000000006AA8: D3E10094 1652493A
	ds_read_b128 a[100:103], v12 offset:512                    // 000000006AB0: DBFE0200 6400000C
	buffer_load_dword v41, v2, s[8:11], 0 idxen                // 000000006AB8: E0502000 80022902
	v_mfma_f32_16x16x16_bf16 v[148:151], v[60:61], a[40:41], v[148:151]// 000000006AC0: D3E10094 1652513C
	v_perm_b32 v100, v37, v36, s63                             // 000000006AC8: D1ED0064 00FE4925
	v_perm_b32 v101, v37, v36, s64                             // 000000006AD0: D1ED0065 01024925
	v_mfma_f32_16x16x16_bf16 v[148:151], v[62:63], a[44:45], v[148:151]// 000000006AD8: D3E10094 1652593E
	ds_read_b128 a[104:107], v12 offset:2176                   // 000000006AE0: DBFE0880 6800000C
	buffer_load_dword v42, v3, s[8:11], 0 idxen                // 000000006AE8: E0502000 80022A03
	v_mfma_f32_16x16x16_bf16 v[148:151], v[64:65], a[48:49], v[148:151]// 000000006AF0: D3E10094 16526140
	v_perm_b32 v102, v39, v38, s63                             // 000000006AF8: D1ED0066 00FE4D27
	v_perm_b32 v103, v39, v38, s64                             // 000000006B00: D1ED0067 01024D27
	v_mfma_f32_16x16x16_bf16 v[148:151], v[66:67], a[52:53], v[148:151]// 000000006B08: D3E10094 16526942
	ds_read_b128 a[108:111], v12 offset:2688                   // 000000006B10: DBFE0A80 6C00000C
	buffer_load_dword v43, v4, s[8:11], 0 idxen                // 000000006B18: E0502000 80022B04
	v_mfma_f32_16x16x16_bf16 v[148:151], v[68:69], a[56:57], v[148:151]// 000000006B20: D3E10094 16527144
	v_perm_b32 v104, v45, v44, s63                             // 000000006B28: D1ED0068 00FE592D
	v_perm_b32 v105, v45, v44, s64                             // 000000006B30: D1ED0069 0102592D
	v_mfma_f32_16x16x16_bf16 v[148:151], v[70:71], a[60:61], v[148:151]// 000000006B38: D3E10094 16527946
	ds_read_b128 v[108:111], v12 offset:8704                   // 000000006B40: D9FE2200 6C00000C
	buffer_load_dword v48, v232, s[20:23], 0 idxen             // 000000006B48: E0502000 800530E8
	v_mfma_f32_16x16x16_bf16 v[148:151], v[72:73], a[64:65], v[148:151]// 000000006B50: D3E10094 16528148
	v_perm_b32 v106, v47, v46, s63                             // 000000006B58: D1ED006A 00FE5D2F
	v_perm_b32 v107, v47, v46, s64                             // 000000006B60: D1ED006B 01025D2F
	v_mfma_f32_16x16x16_bf16 v[148:151], v[74:75], a[68:69], v[148:151]// 000000006B68: D3E10094 1652894A
	ds_read_b128 v[112:115], v12 offset:9216                   // 000000006B70: D9FE2400 7000000C
	buffer_load_dword v49, v233, s[20:23], 0 idxen             // 000000006B78: E0502000 800531E9
	v_mfma_f32_16x16x16_bf16 v[152:155], v[52:53], a[26:27], 0 // 000000006B80: D3E10098 12023534
	v_mov_b32_dpp v143, v140 quad_perm:[3,3,3,3] row_mask:0xf bank_mask:0xf// 000000006B88: 7F1E02FA FF00FF8C
	v_mov_b32_dpp v142, v140 quad_perm:[2,2,2,2] row_mask:0xf bank_mask:0xf// 000000006B90: 7F1C02FA FF00AA8C
	v_mov_b32_dpp v141, v140 quad_perm:[1,1,1,1] row_mask:0xf bank_mask:0xf// 000000006B98: 7F1A02FA FF00558C
	v_mov_b32_dpp v140, v140 quad_perm:[0,0,0,0] row_mask:0xf bank_mask:0xf// 000000006BA0: 7F1802FA FF00008C
	v_mfma_f32_16x16x16_bf16 v[152:155], v[54:55], a[30:31], v[152:155]// 000000006BA8: D3E10098 16623D36
	ds_read_b128 v[116:119], v12 offset:10880                  // 000000006BB0: D9FE2A80 7400000C
	buffer_load_dword v50, v234, s[20:23], 0 idxen             // 000000006BB8: E0502000 800532EA
	v_mfma_f32_16x16x16_bf16 v[152:155], v[56:57], a[34:35], v[152:155]// 000000006BC0: D3E10098 16624538
	v_mov_b32_dpp v147, v144 quad_perm:[3,3,3,3] row_mask:0xf bank_mask:0xf// 000000006BC8: 7F2602FA FF00FF90
	v_mov_b32_dpp v146, v144 quad_perm:[2,2,2,2] row_mask:0xf bank_mask:0xf// 000000006BD0: 7F2402FA FF00AA90
	v_mov_b32_dpp v145, v144 quad_perm:[1,1,1,1] row_mask:0xf bank_mask:0xf// 000000006BD8: 7F2202FA FF005590
	v_mov_b32_dpp v144, v144 quad_perm:[0,0,0,0] row_mask:0xf bank_mask:0xf// 000000006BE0: 7F2002FA FF000090
	s_add_u32 s60, 0x80, s59                                   // 000000006BE8: 803C3BFF 00000080
	v_mfma_f32_16x16x16_bf16 v[152:155], v[58:59], a[38:39], v[152:155]// 000000006BF0: D3E10098 16624D3A
	ds_read_b128 v[120:123], v12 offset:11392                  // 000000006BF8: D9FE2C80 7800000C
	buffer_load_dword v51, v235, s[20:23], 0 idxen             // 000000006C00: E0502000 800533EB
	v_mfma_f32_16x16x16_bf16 v[152:155], v[60:61], a[42:43], v[152:155]// 000000006C08: D3E10098 1662553C
	s_cmp_lt_u32 s60, s58                                      // 000000006C10: BF0A3A3C
	s_cselect_b32 s68, s68, 0                                  // 000000006C14: 85448044
	s_cselect_b32 s100, s100, 0                                // 000000006C18: 85648064
	s_cselect_b32 s69, s69, 0                                  // 000000006C1C: 85458045
	v_mfma_f32_16x16x16_bf16 v[152:155], v[62:63], a[46:47], v[152:155]// 000000006C20: D3E10098 16625D3E
	buffer_load_dword v11, s[24:27], 0 idxen lds               // 000000006C28: E0512000 8006000B
	v_mfma_f32_16x16x16_bf16 v[152:155], v[64:65], a[50:51], v[152:155]// 000000006C30: D3E10098 16626540
	v_add_u32_e32 v1, s68, v1                                  // 000000006C38: 68020244
	v_add_u32_e32 v2, s68, v2                                  // 000000006C3C: 68040444
	v_add_u32_e32 v3, s68, v3                                  // 000000006C40: 68060644
	v_add_u32_e32 v4, s68, v4                                  // 000000006C44: 68080844
	v_mfma_f32_16x16x16_bf16 v[152:155], v[66:67], a[54:55], v[152:155]// 000000006C48: D3E10098 16626D42
	v_add_u32_e32 v232, s100, v232                             // 000000006C50: 69D1D064
	v_add_u32_e32 v233, s100, v233                             // 000000006C54: 69D3D264
	v_add_u32_e32 v234, s100, v234                             // 000000006C58: 69D5D464
	v_add_u32_e32 v235, s100, v235                             // 000000006C5C: 69D7D664
	v_mfma_f32_16x16x16_bf16 v[152:155], v[68:69], a[58:59], v[152:155]// 000000006C60: D3E10098 16627544
	s_mov_b32 m0, s80                                          // 000000006C68: BEFC0050
	v_add_u32_e32 v11, s69, v11                                // 000000006C6C: 68161645
	v_mfma_f32_16x16x16_bf16 v[152:155], v[70:71], a[62:63], v[152:155]// 000000006C70: D3E10098 16627D46
	s_cmp_ge_u32 s59, s73                                      // 000000006C78: BF09493B
	s_cselect_b32 s66, s67, s66                                // 000000006C7C: 85424243
	v_mfma_f32_16x16x16_bf16 v[152:155], v[72:73], a[66:67], v[152:155]// 000000006C80: D3E10098 16628548
	s_addk_i32 s59, 0x20                                       // 000000006C88: B73B0020
	s_nop 0                                                    // 000000006C8C: BF800000
	s_cmp_lt_i32 s59, s58                                      // 000000006C90: BF043A3B
	v_mfma_f32_16x16x16_bf16 v[152:155], v[74:75], a[70:71], v[152:155]// 000000006C94: D3E10098 16628D4A
	s_cbranch_scc0 label_1105                                  // 000000006C9C: BF84054B
	s_waitcnt lgkmcnt(4)                                       // 000000006CA0: BF8CC47F
	s_barrier                                                  // 000000006CA4: BF8A0000
	v_mfma_f32_16x16x16_bf16 v[52:55], a[96:97], a[0:1], 0     // 000000006CA8: D3E10034 1A020160
	ds_write_b32 v13, v44 offset:8704                          // 000000006CB0: D81A2200 00002C0D
	ds_write_b32 v13, v45 offset:9760                          // 000000006CB8: D81A2620 00002D0D
	v_mfma_f32_16x16x16_bf16 v[52:55], a[98:99], a[2:3], v[52:55]// 000000006CC0: D3E10034 1CD20562
	v_mul_f32_e32 v148, s47, v148                              // 000000006CC8: 0B29282F
	v_mul_f32_e32 v149, s47, v149                              // 000000006CCC: 0B2B2A2F
	v_mfma_f32_16x16x16_bf16 v[52:55], a[100:101], a[4:5], v[52:55]// 000000006CD0: D3E10034 1CD20964
	ds_write_b32 v13, v46 offset:10880                         // 000000006CD8: D81A2A80 00002E0D
	ds_write_b32 v13, v47 offset:11936                         // 000000006CE0: D81A2EA0 00002F0D
	v_mfma_f32_16x16x16_bf16 v[52:55], a[102:103], a[6:7], v[52:55]// 000000006CE8: D3E10034 1CD20D66
	v_mul_f32_e32 v150, s47, v150                              // 000000006CF0: 0B2D2C2F
	v_mul_f32_e32 v151, s47, v151                              // 000000006CF4: 0B2F2E2F
	v_mfma_f32_16x16x16_bf16 v[56:59], a[96:97], a[8:9], 0     // 000000006CF8: D3E10038 1A021160
	ds_write_b64 v22, v[148:149] offset:31232                  // 000000006D00: D89A7A00 00009416
	v_mfma_f32_16x16x16_bf16 v[56:59], a[98:99], a[10:11], v[56:59]// 000000006D08: D3E10038 1CE21562
	v_mul_f32_e32 v152, s47, v152                              // 000000006D10: 0B31302F
	v_mul_f32_e32 v153, s47, v153                              // 000000006D14: 0B33322F
	v_mfma_f32_16x16x16_bf16 v[56:59], a[100:101], a[12:13], v[56:59]// 000000006D18: D3E10038 1CE21964
	ds_write_b64 v22, v[150:151] offset:31744                  // 000000006D20: D89A7C00 00009616
	v_mfma_f32_16x16x16_bf16 v[56:59], a[102:103], a[14:15], v[56:59]// 000000006D28: D3E10038 1CE21D66
	v_mul_f32_e32 v154, s47, v154                              // 000000006D30: 0B35342F
	v_mul_f32_e32 v155, s47, v155                              // 000000006D34: 0B37362F
	v_mfma_f32_16x16x16_bf16 v[60:63], a[96:97], a[16:17], 0   // 000000006D38: D3E1003C 1A022160
	ds_write_b64 v22, v[152:153] offset:32256                  // 000000006D40: D89A7E00 00009816
	v_mfma_f32_16x16x16_bf16 v[60:63], a[98:99], a[18:19], v[60:63]// 000000006D48: D3E1003C 1CF22562
	buffer_atomic_add_f32 v160, v8, s[32:35], 0 idxen          // 000000006D50: E1342000 8008A008
	v_mfma_f32_16x16x16_bf16 v[60:63], a[100:101], a[20:21], v[60:63]// 000000006D58: D3E1003C 1CF22964
	ds_write_b64 v22, v[154:155] offset:32768                  // 000000006D60: D89A8000 00009A16
	v_mfma_f32_16x16x16_bf16 v[60:63], a[102:103], a[22:23], v[60:63]// 000000006D68: D3E1003C 1CF22D66
	v_mfma_f32_16x16x16_bf16 v[64:67], a[104:105], a[0:1], 0   // 000000006D70: D3E10040 1A020168
	ds_read_b128 v[124:127], v14 offset:13056                  // 000000006D78: D9FE3300 7C00000E
	ds_write_b32 v13, v36                                      // 000000006D80: D81A0000 0000240D
	v_mfma_f32_16x16x16_bf16 v[64:67], a[106:107], a[2:3], v[64:67]// 000000006D88: D3E10040 1D02056A
	buffer_atomic_add_f32 v161, v9, s[32:35], 0 idxen          // 000000006D90: E1342000 8008A109
	v_mfma_f32_16x16x16_bf16 v[64:67], a[108:109], a[4:5], v[64:67]// 000000006D98: D3E10040 1D02096C
	v_mfma_f32_16x16x16_bf16 v[64:67], a[110:111], a[6:7], v[64:67]// 000000006DA0: D3E10040 1D020D6E
	ds_read_b128 v[128:131], v14 offset:13568                  // 000000006DA8: D9FE3500 8000000E
	ds_write_b32 v13, v37 offset:1056                          // 000000006DB0: D81A0420 0000250D
	v_mfma_f32_16x16x16_bf16 v[68:71], a[104:105], a[8:9], 0   // 000000006DB8: D3E10044 1A021168
	buffer_atomic_add_f32 v162, v8, s[32:35], 0 idxen offset:128// 000000006DC0: E1342080 8008A208
	v_mfma_f32_16x16x16_bf16 v[68:71], a[106:107], a[10:11], v[68:71]// 000000006DC8: D3E10044 1D12156A
	v_mfma_f32_16x16x16_bf16 v[68:71], a[108:109], a[12:13], v[68:71]// 000000006DD0: D3E10044 1D12196C
	ds_read_b128 v[132:135], v14 offset:15232                  // 000000006DD8: D9FE3B80 8400000E
	ds_write_b32 v13, v38 offset:2176                          // 000000006DE0: D81A0880 0000260D
	v_mfma_f32_16x16x16_bf16 v[68:71], a[110:111], a[14:15], v[68:71]// 000000006DE8: D3E10044 1D121D6E
	v_mfma_f32_16x16x16_bf16 v[72:75], a[104:105], a[16:17], 0 // 000000006DF0: D3E10048 1A022168
	buffer_atomic_add_f32 v163, v9, s[32:35], 0 idxen offset:128// 000000006DF8: E1342080 8008A309
	v_mfma_f32_16x16x16_bf16 v[72:75], a[106:107], a[18:19], v[72:75]// 000000006E00: D3E10048 1D22256A
	ds_read_b128 v[136:139], v14 offset:15744                  // 000000006E08: D9FE3D80 8800000E
	ds_write_b32 v13, v39 offset:3232                          // 000000006E10: D81A0CA0 0000270D
	v_mfma_f32_16x16x16_bf16 v[72:75], a[108:109], a[20:21], v[72:75]// 000000006E18: D3E10048 1D22296C
	v_mfma_f32_16x16x16_bf16 v[72:75], a[110:111], a[22:23], v[72:75]// 000000006E20: D3E10048 1D222D6E
	s_cmp_lt_i32 s74, 12                                       // 000000006E28: BF048C4A
	s_cbranch_scc0 label_0CFB                                  // 000000006E2C: BF8400E6
	s_mov_b32 s60, 0xffe0fffe                                  // 000000006E30: BEBC00FF FFE0FFFE
	s_mov_b32 s61, 0xe000fe00                                  // 000000006E38: BEBD00FF E000FE00
	s_nop 0                                                    // 000000006E40: BF800000
	s_add_u32 s62, 0, s46                                      // 000000006E44: 803E2E80
	s_cmp_lt_i32 s74, s62                                      // 000000006E48: BF043E4A
	s_cbranch_scc1 label_0C45                                  // 000000006E4C: BF850028
	s_cmp_eq_i32 s74, s62                                      // 000000006E50: BF003E4A
	s_cbranch_scc1 label_0C2A                                  // 000000006E54: BF85000B
	s_add_u32 s62, 4, s46                                      // 000000006E58: 803E2E84
	s_cmp_lt_i32 s74, s62                                      // 000000006E5C: BF043E4A
	s_cbranch_scc1 label_0C65                                  // 000000006E60: BF850043
	s_cmp_eq_i32 s74, s62                                      // 000000006E64: BF003E4A
	s_cbranch_scc1 label_0C4A                                  // 000000006E68: BF850026
	s_add_u32 s62, 8, s46                                      // 000000006E6C: 803E2E88
	s_cmp_lt_i32 s74, s62                                      // 000000006E70: BF043E4A
	s_cbranch_scc1 label_0C85                                  // 000000006E74: BF85005E
	s_cmp_eq_i32 s74, s62                                      // 000000006E78: BF003E4A
	s_cbranch_scc1 label_0C6A                                  // 000000006E7C: BF850041
	s_branch label_0C8A                                        // 000000006E80: BF820060

0000000000006e84 <label_0C2A>:
	v_cndmask_b32_e64 v52, v52, v178, s[60:61]                 // 000000006E84: D1000034 00F36534
	s_lshl_b32 s60, s60, 1                                     // 000000006E8C: 8E3C813C
	s_lshl_b32 s61, s61, 1                                     // 000000006E90: 8E3D813D
	s_and_b32 s60, 0xfffeffff, s60                             // 000000006E94: 863C3CFF FFFEFFFF
	s_and_b32 s61, 0xfffeffff, s61                             // 000000006E9C: 863D3DFF FFFEFFFF
	v_cndmask_b32_e64 v53, v53, v178, s[60:61]                 // 000000006EA4: D1000035 00F36535
	s_lshl_b32 s60, s60, 1                                     // 000000006EAC: 8E3C813C
	s_lshl_b32 s61, s61, 1                                     // 000000006EB0: 8E3D813D
	s_and_b32 s60, 0xfffeffff, s60                             // 000000006EB4: 863C3CFF FFFEFFFF
	s_and_b32 s61, 0xfffeffff, s61                             // 000000006EBC: 863D3DFF FFFEFFFF
	v_cndmask_b32_e64 v54, v54, v178, s[60:61]                 // 000000006EC4: D1000036 00F36536
	s_lshl_b32 s60, s60, 1                                     // 000000006ECC: 8E3C813C
	s_lshl_b32 s61, s61, 1                                     // 000000006ED0: 8E3D813D
	s_and_b32 s60, 0xfffeffff, s60                             // 000000006ED4: 863C3CFF FFFEFFFF
	s_and_b32 s61, 0xfffeffff, s61                             // 000000006EDC: 863D3DFF FFFEFFFF
	v_cndmask_b32_e64 v55, v55, v178, s[60:61]                 // 000000006EE4: D1000037 00F36537
	s_branch label_0C65                                        // 000000006EEC: BF820020

0000000000006ef0 <label_0C45>:
	v_mov_b32_e32 v52, v178                                    // 000000006EF0: 7E6803B2
	v_mov_b32_e32 v53, v178                                    // 000000006EF4: 7E6A03B2
	v_mov_b32_e32 v54, v178                                    // 000000006EF8: 7E6C03B2
	v_mov_b32_e32 v55, v178                                    // 000000006EFC: 7E6E03B2
	s_branch label_0C65                                        // 000000006F00: BF82001B

0000000000006f04 <label_0C4A>:
	v_cndmask_b32_e64 v56, v56, v178, s[60:61]                 // 000000006F04: D1000038 00F36538
	s_lshl_b32 s60, s60, 1                                     // 000000006F0C: 8E3C813C
	s_lshl_b32 s61, s61, 1                                     // 000000006F10: 8E3D813D
	s_and_b32 s60, 0xfffeffff, s60                             // 000000006F14: 863C3CFF FFFEFFFF
	s_and_b32 s61, 0xfffeffff, s61                             // 000000006F1C: 863D3DFF FFFEFFFF
	v_cndmask_b32_e64 v57, v57, v178, s[60:61]                 // 000000006F24: D1000039 00F36539
	s_lshl_b32 s60, s60, 1                                     // 000000006F2C: 8E3C813C
	s_lshl_b32 s61, s61, 1                                     // 000000006F30: 8E3D813D
	s_and_b32 s60, 0xfffeffff, s60                             // 000000006F34: 863C3CFF FFFEFFFF
	s_and_b32 s61, 0xfffeffff, s61                             // 000000006F3C: 863D3DFF FFFEFFFF
	v_cndmask_b32_e64 v58, v58, v178, s[60:61]                 // 000000006F44: D100003A 00F3653A
	s_lshl_b32 s60, s60, 1                                     // 000000006F4C: 8E3C813C
	s_lshl_b32 s61, s61, 1                                     // 000000006F50: 8E3D813D
	s_and_b32 s60, 0xfffeffff, s60                             // 000000006F54: 863C3CFF FFFEFFFF
	s_and_b32 s61, 0xfffeffff, s61                             // 000000006F5C: 863D3DFF FFFEFFFF
	v_cndmask_b32_e64 v59, v59, v178, s[60:61]                 // 000000006F64: D100003B 00F3653B
	s_branch label_0C85                                        // 000000006F6C: BF820020

0000000000006f70 <label_0C65>:
	v_mov_b32_e32 v56, v178                                    // 000000006F70: 7E7003B2
	v_mov_b32_e32 v57, v178                                    // 000000006F74: 7E7203B2
	v_mov_b32_e32 v58, v178                                    // 000000006F78: 7E7403B2
	v_mov_b32_e32 v59, v178                                    // 000000006F7C: 7E7603B2
	s_branch label_0C85                                        // 000000006F80: BF82001B

0000000000006f84 <label_0C6A>:
	v_cndmask_b32_e64 v60, v60, v178, s[60:61]                 // 000000006F84: D100003C 00F3653C
	s_lshl_b32 s60, s60, 1                                     // 000000006F8C: 8E3C813C
	s_lshl_b32 s61, s61, 1                                     // 000000006F90: 8E3D813D
	s_and_b32 s60, 0xfffeffff, s60                             // 000000006F94: 863C3CFF FFFEFFFF
	s_and_b32 s61, 0xfffeffff, s61                             // 000000006F9C: 863D3DFF FFFEFFFF
	v_cndmask_b32_e64 v61, v61, v178, s[60:61]                 // 000000006FA4: D100003D 00F3653D
	s_lshl_b32 s60, s60, 1                                     // 000000006FAC: 8E3C813C
	s_lshl_b32 s61, s61, 1                                     // 000000006FB0: 8E3D813D
	s_and_b32 s60, 0xfffeffff, s60                             // 000000006FB4: 863C3CFF FFFEFFFF
	s_and_b32 s61, 0xfffeffff, s61                             // 000000006FBC: 863D3DFF FFFEFFFF
	v_cndmask_b32_e64 v62, v62, v178, s[60:61]                 // 000000006FC4: D100003E 00F3653E
	s_lshl_b32 s60, s60, 1                                     // 000000006FCC: 8E3C813C
	s_lshl_b32 s61, s61, 1                                     // 000000006FD0: 8E3D813D
	s_and_b32 s60, 0xfffeffff, s60                             // 000000006FD4: 863C3CFF FFFEFFFF
	s_and_b32 s61, 0xfffeffff, s61                             // 000000006FDC: 863D3DFF FFFEFFFF
	v_cndmask_b32_e64 v63, v63, v178, s[60:61]                 // 000000006FE4: D100003F 00F3653F
	s_branch label_0C8A                                        // 000000006FEC: BF820005

0000000000006ff0 <label_0C85>:
	v_mov_b32_e32 v60, v178                                    // 000000006FF0: 7E7803B2
	v_mov_b32_e32 v61, v178                                    // 000000006FF4: 7E7A03B2
	v_mov_b32_e32 v62, v178                                    // 000000006FF8: 7E7C03B2
	v_mov_b32_e32 v63, v178                                    // 000000006FFC: 7E7E03B2
	s_branch label_0C8A                                        // 000000007000: BF820000

0000000000007004 <label_0C8A>:
	s_addk_i32 s74, 0x1                                        // 000000007004: B74A0001
	s_add_u32 s62, 0, s46                                      // 000000007008: 803E2E80
	s_cmp_lt_i32 s74, s62                                      // 00000000700C: BF043E4A
	s_cbranch_scc1 label_0CB6                                  // 000000007010: BF850028
	s_cmp_eq_i32 s74, s62                                      // 000000007014: BF003E4A
	s_cbranch_scc1 label_0C9B                                  // 000000007018: BF85000B
	s_add_u32 s62, 4, s46                                      // 00000000701C: 803E2E84
	s_cmp_lt_i32 s74, s62                                      // 000000007020: BF043E4A
	s_cbranch_scc1 label_0CD6                                  // 000000007024: BF850043
	s_cmp_eq_i32 s74, s62                                      // 000000007028: BF003E4A
	s_cbranch_scc1 label_0CBB                                  // 00000000702C: BF850026
	s_add_u32 s62, 8, s46                                      // 000000007030: 803E2E88
	s_cmp_lt_i32 s74, s62                                      // 000000007034: BF043E4A
	s_cbranch_scc1 label_0CF6                                  // 000000007038: BF85005E
	s_cmp_eq_i32 s74, s62                                      // 00000000703C: BF003E4A
	s_cbranch_scc1 label_0CDB                                  // 000000007040: BF850041
	s_branch label_0CFB                                        // 000000007044: BF820060

0000000000007048 <label_0C9B>:
	v_cndmask_b32_e64 v64, v64, v178, s[60:61]                 // 000000007048: D1000040 00F36540
	s_lshl_b32 s60, s60, 1                                     // 000000007050: 8E3C813C
	s_lshl_b32 s61, s61, 1                                     // 000000007054: 8E3D813D
	s_and_b32 s60, 0xfffeffff, s60                             // 000000007058: 863C3CFF FFFEFFFF
	s_and_b32 s61, 0xfffeffff, s61                             // 000000007060: 863D3DFF FFFEFFFF
	v_cndmask_b32_e64 v65, v65, v178, s[60:61]                 // 000000007068: D1000041 00F36541
	s_lshl_b32 s60, s60, 1                                     // 000000007070: 8E3C813C
	s_lshl_b32 s61, s61, 1                                     // 000000007074: 8E3D813D
	s_and_b32 s60, 0xfffeffff, s60                             // 000000007078: 863C3CFF FFFEFFFF
	s_and_b32 s61, 0xfffeffff, s61                             // 000000007080: 863D3DFF FFFEFFFF
	v_cndmask_b32_e64 v66, v66, v178, s[60:61]                 // 000000007088: D1000042 00F36542
	s_lshl_b32 s60, s60, 1                                     // 000000007090: 8E3C813C
	s_lshl_b32 s61, s61, 1                                     // 000000007094: 8E3D813D
	s_and_b32 s60, 0xfffeffff, s60                             // 000000007098: 863C3CFF FFFEFFFF
	s_and_b32 s61, 0xfffeffff, s61                             // 0000000070A0: 863D3DFF FFFEFFFF
	v_cndmask_b32_e64 v67, v67, v178, s[60:61]                 // 0000000070A8: D1000043 00F36543
	s_branch label_0CD6                                        // 0000000070B0: BF820020

00000000000070b4 <label_0CB6>:
	v_mov_b32_e32 v64, v178                                    // 0000000070B4: 7E8003B2
	v_mov_b32_e32 v65, v178                                    // 0000000070B8: 7E8203B2
	v_mov_b32_e32 v66, v178                                    // 0000000070BC: 7E8403B2
	v_mov_b32_e32 v67, v178                                    // 0000000070C0: 7E8603B2
	s_branch label_0CD6                                        // 0000000070C4: BF82001B

00000000000070c8 <label_0CBB>:
	v_cndmask_b32_e64 v68, v68, v178, s[60:61]                 // 0000000070C8: D1000044 00F36544
	s_lshl_b32 s60, s60, 1                                     // 0000000070D0: 8E3C813C
	s_lshl_b32 s61, s61, 1                                     // 0000000070D4: 8E3D813D
	s_and_b32 s60, 0xfffeffff, s60                             // 0000000070D8: 863C3CFF FFFEFFFF
	s_and_b32 s61, 0xfffeffff, s61                             // 0000000070E0: 863D3DFF FFFEFFFF
	v_cndmask_b32_e64 v69, v69, v178, s[60:61]                 // 0000000070E8: D1000045 00F36545
	s_lshl_b32 s60, s60, 1                                     // 0000000070F0: 8E3C813C
	s_lshl_b32 s61, s61, 1                                     // 0000000070F4: 8E3D813D
	s_and_b32 s60, 0xfffeffff, s60                             // 0000000070F8: 863C3CFF FFFEFFFF
	s_and_b32 s61, 0xfffeffff, s61                             // 000000007100: 863D3DFF FFFEFFFF
	v_cndmask_b32_e64 v70, v70, v178, s[60:61]                 // 000000007108: D1000046 00F36546
	s_lshl_b32 s60, s60, 1                                     // 000000007110: 8E3C813C
	s_lshl_b32 s61, s61, 1                                     // 000000007114: 8E3D813D
	s_and_b32 s60, 0xfffeffff, s60                             // 000000007118: 863C3CFF FFFEFFFF
	s_and_b32 s61, 0xfffeffff, s61                             // 000000007120: 863D3DFF FFFEFFFF
	v_cndmask_b32_e64 v71, v71, v178, s[60:61]                 // 000000007128: D1000047 00F36547
	s_branch label_0CF6                                        // 000000007130: BF820020

0000000000007134 <label_0CD6>:
	v_mov_b32_e32 v68, v178                                    // 000000007134: 7E8803B2
	v_mov_b32_e32 v69, v178                                    // 000000007138: 7E8A03B2
	v_mov_b32_e32 v70, v178                                    // 00000000713C: 7E8C03B2
	v_mov_b32_e32 v71, v178                                    // 000000007140: 7E8E03B2
	s_branch label_0CF6                                        // 000000007144: BF82001B

0000000000007148 <label_0CDB>:
	v_cndmask_b32_e64 v72, v72, v178, s[60:61]                 // 000000007148: D1000048 00F36548
	s_lshl_b32 s60, s60, 1                                     // 000000007150: 8E3C813C
	s_lshl_b32 s61, s61, 1                                     // 000000007154: 8E3D813D
	s_and_b32 s60, 0xfffeffff, s60                             // 000000007158: 863C3CFF FFFEFFFF
	s_and_b32 s61, 0xfffeffff, s61                             // 000000007160: 863D3DFF FFFEFFFF
	v_cndmask_b32_e64 v73, v73, v178, s[60:61]                 // 000000007168: D1000049 00F36549
	s_lshl_b32 s60, s60, 1                                     // 000000007170: 8E3C813C
	s_lshl_b32 s61, s61, 1                                     // 000000007174: 8E3D813D
	s_and_b32 s60, 0xfffeffff, s60                             // 000000007178: 863C3CFF FFFEFFFF
	s_and_b32 s61, 0xfffeffff, s61                             // 000000007180: 863D3DFF FFFEFFFF
	v_cndmask_b32_e64 v74, v74, v178, s[60:61]                 // 000000007188: D100004A 00F3654A
	s_lshl_b32 s60, s60, 1                                     // 000000007190: 8E3C813C
	s_lshl_b32 s61, s61, 1                                     // 000000007194: 8E3D813D
	s_and_b32 s60, 0xfffeffff, s60                             // 000000007198: 863C3CFF FFFEFFFF
	s_and_b32 s61, 0xfffeffff, s61                             // 0000000071A0: 863D3DFF FFFEFFFF
	v_cndmask_b32_e64 v75, v75, v178, s[60:61]                 // 0000000071A8: D100004B 00F3654B
	s_branch label_0CFB                                        // 0000000071B0: BF820005

00000000000071b4 <label_0CF6>:
	v_mov_b32_e32 v72, v178                                    // 0000000071B4: 7E9003B2
	v_mov_b32_e32 v73, v178                                    // 0000000071B8: 7E9203B2
	v_mov_b32_e32 v74, v178                                    // 0000000071BC: 7E9403B2
	v_mov_b32_e32 v75, v178                                    // 0000000071C0: 7E9603B2
	s_branch label_0CFB                                        // 0000000071C4: BF820000

00000000000071c8 <label_0CFB>:
	s_cmp_lt_i32 s84, 0xc0                                     // 0000000071C8: BF04FF54 000000C0
	s_cbranch_scc0 label_0D74                                  // 0000000071D0: BF84006D
	s_cmp_le_i32 s84, 64                                       // 0000000071D4: BF05C054
	s_cbranch_scc1 label_0D07                                  // 0000000071D8: BF850007
	s_cmp_le_i32 s84, 0x80                                     // 0000000071DC: BF05FF54 00000080
	s_cbranch_scc1 label_0D2B                                  // 0000000071E4: BF85001F
	s_cmp_lt_i32 s84, 0xc0                                     // 0000000071E8: BF04FF54 000000C0
	s_cbranch_scc1 label_0D4F                                  // 0000000071F0: BF850040
	s_branch label_0D74                                        // 0000000071F4: BF820064

00000000000071f8 <label_0D07>:
	s_mov_b32 s60, 0                                           // 0000000071F8: BEBC0080
	v_and_b32_e32 v32, 15, v0                                  // 0000000071FC: 2640008F
	v_add_u32_e64 v32, v32, s60                                // 000000007200: D1340020 00007920
	v_mul_i32_i24_e64 v33, s46, 16                             // 000000007208: D1060021 0001202E
	v_add_u32_e32 v32, v32, v33                                // 000000007210: 68404320
	v_cmp_lt_u32_e64 s[60:61], v32, s84                        // 000000007214: D0C9003C 0000A920
	s_nop 1                                                    // 00000000721C: BF800001
	v_cndmask_b32_e64 v52, v178, v52, s[60:61]                 // 000000007220: D1000034 00F269B2
	v_cndmask_b32_e64 v64, v178, v64, s[60:61]                 // 000000007228: D1000040 00F281B2
	v_cndmask_b32_e64 v53, v178, v53, s[60:61]                 // 000000007230: D1000035 00F26BB2
	v_cndmask_b32_e64 v65, v178, v65, s[60:61]                 // 000000007238: D1000041 00F283B2
	v_cndmask_b32_e64 v54, v178, v54, s[60:61]                 // 000000007240: D1000036 00F26DB2
	v_cndmask_b32_e64 v66, v178, v66, s[60:61]                 // 000000007248: D1000042 00F285B2
	v_cndmask_b32_e64 v55, v178, v55, s[60:61]                 // 000000007250: D1000037 00F26FB2
	v_cndmask_b32_e64 v67, v178, v67, s[60:61]                 // 000000007258: D1000043 00F287B2
	s_branch label_0D46                                        // 000000007260: BF82001B

0000000000007264 <label_0D2B>:
	s_mov_b32 s60, 64                                          // 000000007264: BEBC00C0
	v_and_b32_e32 v32, 15, v0                                  // 000000007268: 2640008F
	v_add_u32_e64 v32, v32, s60                                // 00000000726C: D1340020 00007920
	v_mul_i32_i24_e64 v33, s46, 16                             // 000000007274: D1060021 0001202E
	v_add_u32_e32 v32, v32, v33                                // 00000000727C: 68404320
	v_cmp_lt_u32_e64 s[60:61], v32, s84                        // 000000007280: D0C9003C 0000A920
	s_nop 1                                                    // 000000007288: BF800001
	v_cndmask_b32_e64 v56, v178, v56, s[60:61]                 // 00000000728C: D1000038 00F271B2
	v_cndmask_b32_e64 v68, v178, v68, s[60:61]                 // 000000007294: D1000044 00F289B2
	v_cndmask_b32_e64 v57, v178, v57, s[60:61]                 // 00000000729C: D1000039 00F273B2
	v_cndmask_b32_e64 v69, v178, v69, s[60:61]                 // 0000000072A4: D1000045 00F28BB2
	v_cndmask_b32_e64 v58, v178, v58, s[60:61]                 // 0000000072AC: D100003A 00F275B2
	v_cndmask_b32_e64 v70, v178, v70, s[60:61]                 // 0000000072B4: D1000046 00F28DB2
	v_cndmask_b32_e64 v59, v178, v59, s[60:61]                 // 0000000072BC: D100003B 00F277B2
	v_cndmask_b32_e64 v71, v178, v71, s[60:61]                 // 0000000072C4: D1000047 00F28FB2
	s_branch label_0D6B                                        // 0000000072CC: BF820025

00000000000072d0 <label_0D46>:
	v_mov_b32_e32 v56, v178                                    // 0000000072D0: 7E7003B2
	v_mov_b32_e32 v68, v178                                    // 0000000072D4: 7E8803B2
	v_mov_b32_e32 v57, v178                                    // 0000000072D8: 7E7203B2
	v_mov_b32_e32 v69, v178                                    // 0000000072DC: 7E8A03B2
	v_mov_b32_e32 v58, v178                                    // 0000000072E0: 7E7403B2
	v_mov_b32_e32 v70, v178                                    // 0000000072E4: 7E8C03B2
	v_mov_b32_e32 v59, v178                                    // 0000000072E8: 7E7603B2
	v_mov_b32_e32 v71, v178                                    // 0000000072EC: 7E8E03B2
	s_branch label_0D6B                                        // 0000000072F0: BF82001C

00000000000072f4 <label_0D4F>:
	s_mov_b32 s60, 0x80                                        // 0000000072F4: BEBC00FF 00000080
	v_and_b32_e32 v32, 15, v0                                  // 0000000072FC: 2640008F
	v_add_u32_e64 v32, v32, s60                                // 000000007300: D1340020 00007920
	v_mul_i32_i24_e64 v33, s46, 16                             // 000000007308: D1060021 0001202E
	v_add_u32_e32 v32, v32, v33                                // 000000007310: 68404320
	v_cmp_lt_u32_e64 s[60:61], v32, s84                        // 000000007314: D0C9003C 0000A920
	s_nop 1                                                    // 00000000731C: BF800001
	v_cndmask_b32_e64 v60, v178, v60, s[60:61]                 // 000000007320: D100003C 00F279B2
	v_cndmask_b32_e64 v72, v178, v72, s[60:61]                 // 000000007328: D1000048 00F291B2
	v_cndmask_b32_e64 v61, v178, v61, s[60:61]                 // 000000007330: D100003D 00F27BB2
	v_cndmask_b32_e64 v73, v178, v73, s[60:61]                 // 000000007338: D1000049 00F293B2
	v_cndmask_b32_e64 v62, v178, v62, s[60:61]                 // 000000007340: D100003E 00F27DB2
	v_cndmask_b32_e64 v74, v178, v74, s[60:61]                 // 000000007348: D100004A 00F295B2
	v_cndmask_b32_e64 v63, v178, v63, s[60:61]                 // 000000007350: D100003F 00F27FB2
	v_cndmask_b32_e64 v75, v178, v75, s[60:61]                 // 000000007358: D100004B 00F297B2
	s_branch label_0D74                                        // 000000007360: BF820009

0000000000007364 <label_0D6B>:
	v_mov_b32_e32 v60, v178                                    // 000000007364: 7E7803B2
	v_mov_b32_e32 v72, v178                                    // 000000007368: 7E9003B2
	v_mov_b32_e32 v61, v178                                    // 00000000736C: 7E7A03B2
	v_mov_b32_e32 v73, v178                                    // 000000007370: 7E9203B2
	v_mov_b32_e32 v62, v178                                    // 000000007374: 7E7C03B2
	v_mov_b32_e32 v74, v178                                    // 000000007378: 7E9403B2
	v_mov_b32_e32 v63, v178                                    // 00000000737C: 7E7E03B2
	v_mov_b32_e32 v75, v178                                    // 000000007380: 7E9603B2
	s_branch label_0D74                                        // 000000007384: BF820000

0000000000007388 <label_0D74>:
	s_addk_i32 s74, 0x1                                        // 000000007388: B74A0001
	s_waitcnt lgkmcnt(8)                                       // 00000000738C: BF8CC87F
	s_barrier                                                  // 000000007390: BF8A0000
	v_mfma_f32_16x16x16_bf16 v[76:79], v[108:109], a[72:73], 0 // 000000007394: D3E1004C 1202916C
	ds_read_b128 a[96:99], v14 offset:4352                     // 00000000739C: DBFE1100 6000000E
	ds_read_b128 a[100:103], v14 offset:4864                   // 0000000073A4: DBFE1300 6400000E
	v_mfma_f32_16x16x16_bf16 v[76:79], v[110:111], a[74:75], v[76:79]// 0000000073AC: D3E1004C 1532956E
	v_fma_f32 v52, v52, s57, -v140                             // 0000000073B4: D1CB0034 86307334
	v_fma_f32 v53, v53, s57, -v141                             // 0000000073BC: D1CB0035 86347335
	v_fma_f32 v54, v54, s57, -v142                             // 0000000073C4: D1CB0036 86387336
	v_fma_f32 v55, v55, s57, -v143                             // 0000000073CC: D1CB0037 863C7337
	v_fma_f32 v56, v56, s57, -v140                             // 0000000073D4: D1CB0038 86307338
	v_fma_f32 v57, v57, s57, -v141                             // 0000000073DC: D1CB0039 86347339
	v_mfma_f32_16x16x16_bf16 v[76:79], v[112:113], a[76:77], v[76:79]// 0000000073E4: D3E1004C 15329970
	v_fma_f32 v58, v58, s57, -v142                             // 0000000073EC: D1CB003A 8638733A
	v_fma_f32 v59, v59, s57, -v143                             // 0000000073F4: D1CB003B 863C733B
	v_fma_f32 v60, v60, s57, -v140                             // 0000000073FC: D1CB003C 8630733C
	v_fma_f32 v61, v61, s57, -v141                             // 000000007404: D1CB003D 8634733D
	v_fma_f32 v62, v62, s57, -v142                             // 00000000740C: D1CB003E 8638733E
	v_fma_f32 v63, v63, s57, -v143                             // 000000007414: D1CB003F 863C733F
	v_mfma_f32_16x16x16_bf16 v[76:79], v[114:115], a[78:79], v[76:79]// 00000000741C: D3E1004C 15329D72
	v_fma_f32 v64, v64, s57, -v144                             // 000000007424: D1CB0040 86407340
	v_fma_f32 v65, v65, s57, -v145                             // 00000000742C: D1CB0041 86447341
	v_fma_f32 v66, v66, s57, -v146                             // 000000007434: D1CB0042 86487342
	v_fma_f32 v67, v67, s57, -v147                             // 00000000743C: D1CB0043 864C7343
	v_fma_f32 v68, v68, s57, -v144                             // 000000007444: D1CB0044 86407344
	v_fma_f32 v69, v69, s57, -v145                             // 00000000744C: D1CB0045 86447345
	v_mfma_f32_16x16x16_bf16 v[80:83], v[108:109], a[80:81], 0 // 000000007454: D3E10050 1202A16C
	ds_read_b128 a[104:107], v14 offset:6528                   // 00000000745C: DBFE1980 6800000E
	ds_read_b128 a[108:111], v14 offset:7040                   // 000000007464: DBFE1B80 6C00000E
	v_mfma_f32_16x16x16_bf16 v[80:83], v[110:111], a[82:83], v[80:83]// 00000000746C: D3E10050 1542A56E
	v_fma_f32 v70, v70, s57, -v146                             // 000000007474: D1CB0046 86487346
	v_fma_f32 v71, v71, s57, -v147                             // 00000000747C: D1CB0047 864C7347
	v_fma_f32 v72, v72, s57, -v144                             // 000000007484: D1CB0048 86407348
	v_fma_f32 v73, v73, s57, -v145                             // 00000000748C: D1CB0049 86447349
	v_fma_f32 v74, v74, s57, -v146                             // 000000007494: D1CB004A 8648734A
	v_fma_f32 v75, v75, s57, -v147                             // 00000000749C: D1CB004B 864C734B
	v_mfma_f32_16x16x16_bf16 v[80:83], v[112:113], a[84:85], v[80:83]// 0000000074A4: D3E10050 1542A970
	v_exp_f32_e32 v52, v52                                     // 0000000074AC: 7E684134
	v_exp_f32_e32 v53, v53                                     // 0000000074B0: 7E6A4135
	v_mfma_f32_16x16x16_bf16 v[80:83], v[114:115], a[86:87], v[80:83]// 0000000074B4: D3E10050 1542AD72
	v_exp_f32_e32 v54, v54                                     // 0000000074BC: 7E6C4136
	v_exp_f32_e32 v55, v55                                     // 0000000074C0: 7E6E4137
	v_mfma_f32_16x16x16_bf16 v[84:87], v[108:109], a[88:89], 0 // 0000000074C4: D3E10054 1202B16C
	ds_read_b64 v[156:157], v21 offset:31232                   // 0000000074CC: D8EC7A00 9C000015
	ds_read_b64 v[158:159], v21 offset:33280                   // 0000000074D4: D8EC8200 9E000015
	v_mfma_f32_16x16x16_bf16 v[84:87], v[110:111], a[90:91], v[84:87]// 0000000074DC: D3E10054 1552B56E
	v_exp_f32_e32 v56, v56                                     // 0000000074E4: 7E704138
	v_exp_f32_e32 v57, v57                                     // 0000000074E8: 7E724139
	v_mfma_f32_16x16x16_bf16 v[84:87], v[112:113], a[92:93], v[84:87]// 0000000074EC: D3E10054 1552B970
	ds_read_b64 v[160:161], v21 offset:35328                   // 0000000074F4: D8EC8A00 A0000015
	ds_read_b64 v[162:163], v21 offset:37376                   // 0000000074FC: D8EC9200 A2000015
	v_mfma_f32_16x16x16_bf16 v[84:87], v[114:115], a[94:95], v[84:87]// 000000007504: D3E10054 1552BD72
	v_exp_f32_e32 v58, v58                                     // 00000000750C: 7E74413A
	v_exp_f32_e32 v59, v59                                     // 000000007510: 7E76413B
	v_mfma_f32_16x16x16_bf16 v[88:91], v[116:117], a[72:73], 0 // 000000007514: D3E10058 12029174
	v_exp_f32_e32 v60, v60                                     // 00000000751C: 7E78413C
	v_exp_f32_e32 v61, v61                                     // 000000007520: 7E7A413D
	v_mfma_f32_16x16x16_bf16 v[88:91], v[118:119], a[74:75], v[88:91]// 000000007524: D3E10058 15629576
	v_exp_f32_e32 v62, v62                                     // 00000000752C: 7E7C413E
	v_exp_f32_e32 v63, v63                                     // 000000007530: 7E7E413F
	v_mfma_f32_16x16x16_bf16 v[88:91], v[120:121], a[76:77], v[88:91]// 000000007534: D3E10058 15629978
	v_exp_f32_e32 v64, v64                                     // 00000000753C: 7E804140
	v_exp_f32_e32 v65, v65                                     // 000000007540: 7E824141
	v_mfma_f32_16x16x16_bf16 v[88:91], v[122:123], a[78:79], v[88:91]// 000000007544: D3E10058 15629D7A
	v_exp_f32_e32 v66, v66                                     // 00000000754C: 7E844142
	v_exp_f32_e32 v67, v67                                     // 000000007550: 7E864143
	v_mfma_f32_16x16x16_bf16 v[92:95], v[116:117], a[80:81], 0 // 000000007554: D3E1005C 1202A174
	v_exp_f32_e32 v68, v68                                     // 00000000755C: 7E884144
	v_exp_f32_e32 v69, v69                                     // 000000007560: 7E8A4145
	v_mfma_f32_16x16x16_bf16 v[92:95], v[118:119], a[82:83], v[92:95]// 000000007564: D3E1005C 1572A576
	v_exp_f32_e32 v70, v70                                     // 00000000756C: 7E8C4146
	v_exp_f32_e32 v71, v71                                     // 000000007570: 7E8E4147
	v_mfma_f32_16x16x16_bf16 v[92:95], v[120:121], a[84:85], v[92:95]// 000000007574: D3E1005C 1572A978
	v_exp_f32_e32 v72, v72                                     // 00000000757C: 7E904148
	v_exp_f32_e32 v73, v73                                     // 000000007580: 7E924149
	v_mfma_f32_16x16x16_bf16 v[92:95], v[122:123], a[86:87], v[92:95]// 000000007584: D3E1005C 1572AD7A
	v_exp_f32_e32 v74, v74                                     // 00000000758C: 7E94414A
	v_exp_f32_e32 v75, v75                                     // 000000007590: 7E96414B
	v_mfma_f32_16x16x16_bf16 v[96:99], v[116:117], a[88:89], 0 // 000000007594: D3E10060 1202B174
	v_cmp_u_f32_e64 s[78:79], v52, v52                         // 00000000759C: D048004E 00026934
	v_add3_u32 v228, v52, v231, 1                              // 0000000075A4: D1FF00E4 0207CF34
	v_cndmask_b32_e64 v32, v228, v230, s[78:79]                // 0000000075AC: D1000020 013BCDE4
	v_cmp_u_f32_e64 s[78:79], v53, v53                         // 0000000075B4: D048004E 00026B35
	v_add3_u32 v228, v53, v231, 1                              // 0000000075BC: D1FF00E4 0207CF35
	v_cndmask_b32_e64 v33, v228, v230, s[78:79]                // 0000000075C4: D1000021 013BCDE4
	v_perm_b32 v164, v33, v32, s64                             // 0000000075CC: D1ED00A4 01024121
	v_cmp_u_f32_e64 s[78:79], v54, v54                         // 0000000075D4: D048004E 00026D36
	v_add3_u32 v228, v54, v231, 1                              // 0000000075DC: D1FF00E4 0207CF36
	v_cndmask_b32_e64 v32, v228, v230, s[78:79]                // 0000000075E4: D1000020 013BCDE4
	v_cmp_u_f32_e64 s[78:79], v55, v55                         // 0000000075EC: D048004E 00026F37
	v_add3_u32 v228, v55, v231, 1                              // 0000000075F4: D1FF00E4 0207CF37
	v_cndmask_b32_e64 v33, v228, v230, s[78:79]                // 0000000075FC: D1000021 013BCDE4
	v_perm_b32 v165, v33, v32, s64                             // 000000007604: D1ED00A5 01024121
	v_cmp_u_f32_e64 s[78:79], v56, v56                         // 00000000760C: D048004E 00027138
	v_add3_u32 v228, v56, v231, 1                              // 000000007614: D1FF00E4 0207CF38
	v_cndmask_b32_e64 v32, v228, v230, s[78:79]                // 00000000761C: D1000020 013BCDE4
	v_cmp_u_f32_e64 s[78:79], v57, v57                         // 000000007624: D048004E 00027339
	v_add3_u32 v228, v57, v231, 1                              // 00000000762C: D1FF00E4 0207CF39
	v_cndmask_b32_e64 v33, v228, v230, s[78:79]                // 000000007634: D1000021 013BCDE4
	v_perm_b32 v166, v33, v32, s64                             // 00000000763C: D1ED00A6 01024121
	v_cmp_u_f32_e64 s[78:79], v58, v58                         // 000000007644: D048004E 0002753A
	v_add3_u32 v228, v58, v231, 1                              // 00000000764C: D1FF00E4 0207CF3A
	v_cndmask_b32_e64 v32, v228, v230, s[78:79]                // 000000007654: D1000020 013BCDE4
	v_cmp_u_f32_e64 s[78:79], v59, v59                         // 00000000765C: D048004E 0002773B
	v_add3_u32 v228, v59, v231, 1                              // 000000007664: D1FF00E4 0207CF3B
	v_cndmask_b32_e64 v33, v228, v230, s[78:79]                // 00000000766C: D1000021 013BCDE4
	v_perm_b32 v167, v33, v32, s64                             // 000000007674: D1ED00A7 01024121
	v_cmp_u_f32_e64 s[78:79], v60, v60                         // 00000000767C: D048004E 0002793C
	v_add3_u32 v228, v60, v231, 1                              // 000000007684: D1FF00E4 0207CF3C
	v_cndmask_b32_e64 v32, v228, v230, s[78:79]                // 00000000768C: D1000020 013BCDE4
	v_cmp_u_f32_e64 s[78:79], v61, v61                         // 000000007694: D048004E 00027B3D
	v_add3_u32 v228, v61, v231, 1                              // 00000000769C: D1FF00E4 0207CF3D
	v_cndmask_b32_e64 v33, v228, v230, s[78:79]                // 0000000076A4: D1000021 013BCDE4
	v_perm_b32 v168, v33, v32, s64                             // 0000000076AC: D1ED00A8 01024121
	v_cmp_u_f32_e64 s[78:79], v62, v62                         // 0000000076B4: D048004E 00027D3E
	v_add3_u32 v228, v62, v231, 1                              // 0000000076BC: D1FF00E4 0207CF3E
	v_cndmask_b32_e64 v32, v228, v230, s[78:79]                // 0000000076C4: D1000020 013BCDE4
	v_cmp_u_f32_e64 s[78:79], v63, v63                         // 0000000076CC: D048004E 00027F3F
	v_add3_u32 v228, v63, v231, 1                              // 0000000076D4: D1FF00E4 0207CF3F
	v_cndmask_b32_e64 v33, v228, v230, s[78:79]                // 0000000076DC: D1000021 013BCDE4
	v_perm_b32 v169, v33, v32, s64                             // 0000000076E4: D1ED00A9 01024121
	v_mfma_f32_16x16x16_bf16 v[96:99], v[118:119], a[90:91], v[96:99]// 0000000076EC: D3E10060 1582B576
	v_cmp_u_f32_e64 s[78:79], v64, v64                         // 0000000076F4: D048004E 00028140
	v_add3_u32 v228, v64, v231, 1                              // 0000000076FC: D1FF00E4 0207CF40
	v_cndmask_b32_e64 v32, v228, v230, s[78:79]                // 000000007704: D1000020 013BCDE4
	v_cmp_u_f32_e64 s[78:79], v65, v65                         // 00000000770C: D048004E 00028341
	v_add3_u32 v228, v65, v231, 1                              // 000000007714: D1FF00E4 0207CF41
	v_cndmask_b32_e64 v33, v228, v230, s[78:79]                // 00000000771C: D1000021 013BCDE4
	v_perm_b32 v170, v33, v32, s64                             // 000000007724: D1ED00AA 01024121
	v_cmp_u_f32_e64 s[78:79], v66, v66                         // 00000000772C: D048004E 00028542
	v_add3_u32 v228, v66, v231, 1                              // 000000007734: D1FF00E4 0207CF42
	v_cndmask_b32_e64 v32, v228, v230, s[78:79]                // 00000000773C: D1000020 013BCDE4
	v_cmp_u_f32_e64 s[78:79], v67, v67                         // 000000007744: D048004E 00028743
	v_add3_u32 v228, v67, v231, 1                              // 00000000774C: D1FF00E4 0207CF43
	v_cndmask_b32_e64 v33, v228, v230, s[78:79]                // 000000007754: D1000021 013BCDE4
	v_perm_b32 v171, v33, v32, s64                             // 00000000775C: D1ED00AB 01024121
	v_cmp_u_f32_e64 s[78:79], v68, v68                         // 000000007764: D048004E 00028944
	v_add3_u32 v228, v68, v231, 1                              // 00000000776C: D1FF00E4 0207CF44
	v_cndmask_b32_e64 v32, v228, v230, s[78:79]                // 000000007774: D1000020 013BCDE4
	v_cmp_u_f32_e64 s[78:79], v69, v69                         // 00000000777C: D048004E 00028B45
	v_add3_u32 v228, v69, v231, 1                              // 000000007784: D1FF00E4 0207CF45
	v_cndmask_b32_e64 v33, v228, v230, s[78:79]                // 00000000778C: D1000021 013BCDE4
	v_perm_b32 v172, v33, v32, s64                             // 000000007794: D1ED00AC 01024121
	v_cmp_u_f32_e64 s[78:79], v70, v70                         // 00000000779C: D048004E 00028D46
	v_add3_u32 v228, v70, v231, 1                              // 0000000077A4: D1FF00E4 0207CF46
	v_cndmask_b32_e64 v32, v228, v230, s[78:79]                // 0000000077AC: D1000020 013BCDE4
	v_cmp_u_f32_e64 s[78:79], v71, v71                         // 0000000077B4: D048004E 00028F47
	v_add3_u32 v228, v71, v231, 1                              // 0000000077BC: D1FF00E4 0207CF47
	v_cndmask_b32_e64 v33, v228, v230, s[78:79]                // 0000000077C4: D1000021 013BCDE4
	v_perm_b32 v173, v33, v32, s64                             // 0000000077CC: D1ED00AD 01024121
	v_cmp_u_f32_e64 s[78:79], v72, v72                         // 0000000077D4: D048004E 00029148
	v_add3_u32 v228, v72, v231, 1                              // 0000000077DC: D1FF00E4 0207CF48
	v_cndmask_b32_e64 v32, v228, v230, s[78:79]                // 0000000077E4: D1000020 013BCDE4
	v_cmp_u_f32_e64 s[78:79], v73, v73                         // 0000000077EC: D048004E 00029349
	v_add3_u32 v228, v73, v231, 1                              // 0000000077F4: D1FF00E4 0207CF49
	v_cndmask_b32_e64 v33, v228, v230, s[78:79]                // 0000000077FC: D1000021 013BCDE4
	v_perm_b32 v174, v33, v32, s64                             // 000000007804: D1ED00AE 01024121
	v_cmp_u_f32_e64 s[78:79], v74, v74                         // 00000000780C: D048004E 0002954A
	v_add3_u32 v228, v74, v231, 1                              // 000000007814: D1FF00E4 0207CF4A
	v_cndmask_b32_e64 v32, v228, v230, s[78:79]                // 00000000781C: D1000020 013BCDE4
	v_cmp_u_f32_e64 s[78:79], v75, v75                         // 000000007824: D048004E 0002974B
	v_add3_u32 v228, v75, v231, 1                              // 00000000782C: D1FF00E4 0207CF4B
	v_cndmask_b32_e64 v33, v228, v230, s[78:79]                // 000000007834: D1000021 013BCDE4
	v_perm_b32 v175, v33, v32, s64                             // 00000000783C: D1ED00AF 01024121
	v_mfma_f32_16x16x16_bf16 v[96:99], v[120:121], a[92:93], v[96:99]// 000000007844: D3E10060 1582B978
	v_add_u32_e32 v6, s66, v6                                  // 00000000784C: 680C0C42
	v_add_u32_e32 v7, s66, v7                                  // 000000007850: 680E0E42
	v_add_u32_e32 v8, s66, v8                                  // 000000007854: 68101042
	v_add_u32_e32 v9, s66, v9                                  // 000000007858: 68121242
	v_mfma_f32_16x16x16_bf16 v[96:99], v[122:123], a[94:95], v[96:99]// 00000000785C: D3E10060 1582BD7A
	s_waitcnt lgkmcnt(0)                                       // 000000007864: BF8CC07F
	s_barrier                                                  // 000000007868: BF8A0000
	v_mfma_f32_16x16x16_bf16 v[180:183], v[124:125], v[164:165], v[180:183]// 00000000786C: D3E100B4 06D3497C
	v_subrev_f32_dpp v76, v176, v76 quad_perm:[0,0,0,0] row_mask:0xf bank_mask:0xf// 000000007874: 069898FA FF0000B0
	v_subrev_f32_dpp v77, v176, v77 quad_perm:[1,1,1,1] row_mask:0xf bank_mask:0xf// 00000000787C: 069A9AFA FF0055B0
	v_subrev_f32_dpp v78, v176, v78 quad_perm:[2,2,2,2] row_mask:0xf bank_mask:0xf// 000000007884: 069C9CFA FF00AAB0
	v_subrev_f32_dpp v79, v176, v79 quad_perm:[3,3,3,3] row_mask:0xf bank_mask:0xf// 00000000788C: 069E9EFA FF00FFB0
	v_subrev_f32_dpp v80, v176, v80 quad_perm:[0,0,0,0] row_mask:0xf bank_mask:0xf// 000000007894: 06A0A0FA FF0000B0
	v_subrev_f32_dpp v81, v176, v81 quad_perm:[1,1,1,1] row_mask:0xf bank_mask:0xf// 00000000789C: 06A2A2FA FF0055B0
	v_mfma_f32_16x16x16_bf16 v[184:187], v[126:127], v[164:165], v[184:187]// 0000000078A4: D3E100B8 06E3497E
	v_subrev_f32_dpp v82, v176, v82 quad_perm:[2,2,2,2] row_mask:0xf bank_mask:0xf// 0000000078AC: 06A4A4FA FF00AAB0
	v_subrev_f32_dpp v83, v176, v83 quad_perm:[3,3,3,3] row_mask:0xf bank_mask:0xf// 0000000078B4: 06A6A6FA FF00FFB0
	v_subrev_f32_dpp v84, v176, v84 quad_perm:[0,0,0,0] row_mask:0xf bank_mask:0xf// 0000000078BC: 06A8A8FA FF0000B0
	v_subrev_f32_dpp v85, v176, v85 quad_perm:[1,1,1,1] row_mask:0xf bank_mask:0xf// 0000000078C4: 06AAAAFA FF0055B0
	v_subrev_f32_dpp v86, v176, v86 quad_perm:[2,2,2,2] row_mask:0xf bank_mask:0xf// 0000000078CC: 06ACACFA FF00AAB0
	v_subrev_f32_dpp v87, v176, v87 quad_perm:[3,3,3,3] row_mask:0xf bank_mask:0xf// 0000000078D4: 06AEAEFA FF00FFB0
	v_mfma_f32_16x16x16_bf16 v[188:191], v[128:129], v[164:165], v[188:191]// 0000000078DC: D3E100BC 06F34980
	v_mul_f32_e32 v76, v52, v76                                // 0000000078E4: 0A989934
	v_mul_f32_e32 v77, v53, v77                                // 0000000078E8: 0A9A9B35
	v_mul_f32_e32 v78, v54, v78                                // 0000000078EC: 0A9C9D36
	v_mul_f32_e32 v79, v55, v79                                // 0000000078F0: 0A9E9F37
	v_mul_f32_e32 v80, v56, v80                                // 0000000078F4: 0AA0A138
	v_mul_f32_e32 v81, v57, v81                                // 0000000078F8: 0AA2A339
	v_mfma_f32_16x16x16_bf16 v[192:195], v[130:131], v[164:165], v[192:195]// 0000000078FC: D3E100C0 07034982
	v_mul_f32_e32 v82, v58, v82                                // 000000007904: 0AA4A53A
	v_mul_f32_e32 v83, v59, v83                                // 000000007908: 0AA6A73B
	v_mul_f32_e32 v84, v60, v84                                // 00000000790C: 0AA8A93C
	v_mul_f32_e32 v85, v61, v85                                // 000000007910: 0AAAAB3D
	v_mul_f32_e32 v86, v62, v86                                // 000000007914: 0AACAD3E
	v_mul_f32_e32 v87, v63, v87                                // 000000007918: 0AAEAF3F
	v_mfma_f32_16x16x16_bf16 v[196:199], v[124:125], v[166:167], v[196:199]// 00000000791C: D3E100C4 07134D7C
	v_cmp_u_f32_e64 s[78:79], v76, v76                         // 000000007924: D048004E 0002994C
	v_add3_u32 v228, v76, v231, 1                              // 00000000792C: D1FF00E4 0207CF4C
	v_cndmask_b32_e64 v32, v228, v230, s[78:79]                // 000000007934: D1000020 013BCDE4
	v_cmp_u_f32_e64 s[78:79], v77, v77                         // 00000000793C: D048004E 00029B4D
	v_add3_u32 v228, v77, v231, 1                              // 000000007944: D1FF00E4 0207CF4D
	v_cndmask_b32_e64 v33, v228, v230, s[78:79]                // 00000000794C: D1000021 013BCDE4
	v_perm_b32 v76, v33, v32, s64                              // 000000007954: D1ED004C 01024121
	v_cmp_u_f32_e64 s[78:79], v78, v78                         // 00000000795C: D048004E 00029D4E
	v_add3_u32 v228, v78, v231, 1                              // 000000007964: D1FF00E4 0207CF4E
	v_cndmask_b32_e64 v32, v228, v230, s[78:79]                // 00000000796C: D1000020 013BCDE4
	v_cmp_u_f32_e64 s[78:79], v79, v79                         // 000000007974: D048004E 00029F4F
	v_add3_u32 v228, v79, v231, 1                              // 00000000797C: D1FF00E4 0207CF4F
	v_cndmask_b32_e64 v33, v228, v230, s[78:79]                // 000000007984: D1000021 013BCDE4
	v_perm_b32 v77, v33, v32, s64                              // 00000000798C: D1ED004D 01024121
	v_cmp_u_f32_e64 s[78:79], v80, v80                         // 000000007994: D048004E 0002A150
	v_add3_u32 v228, v80, v231, 1                              // 00000000799C: D1FF00E4 0207CF50
	v_cndmask_b32_e64 v32, v228, v230, s[78:79]                // 0000000079A4: D1000020 013BCDE4
	v_cmp_u_f32_e64 s[78:79], v81, v81                         // 0000000079AC: D048004E 0002A351
	v_add3_u32 v228, v81, v231, 1                              // 0000000079B4: D1FF00E4 0207CF51
	v_cndmask_b32_e64 v33, v228, v230, s[78:79]                // 0000000079BC: D1000021 013BCDE4
	v_perm_b32 v78, v33, v32, s64                              // 0000000079C4: D1ED004E 01024121
	v_cmp_u_f32_e64 s[78:79], v82, v82                         // 0000000079CC: D048004E 0002A552
	v_add3_u32 v228, v82, v231, 1                              // 0000000079D4: D1FF00E4 0207CF52
	v_cndmask_b32_e64 v32, v228, v230, s[78:79]                // 0000000079DC: D1000020 013BCDE4
	v_cmp_u_f32_e64 s[78:79], v83, v83                         // 0000000079E4: D048004E 0002A753
	v_add3_u32 v228, v83, v231, 1                              // 0000000079EC: D1FF00E4 0207CF53
	v_cndmask_b32_e64 v33, v228, v230, s[78:79]                // 0000000079F4: D1000021 013BCDE4
	v_perm_b32 v79, v33, v32, s64                              // 0000000079FC: D1ED004F 01024121
	v_cmp_u_f32_e64 s[78:79], v84, v84                         // 000000007A04: D048004E 0002A954
	v_add3_u32 v228, v84, v231, 1                              // 000000007A0C: D1FF00E4 0207CF54
	v_cndmask_b32_e64 v32, v228, v230, s[78:79]                // 000000007A14: D1000020 013BCDE4
	v_cmp_u_f32_e64 s[78:79], v85, v85                         // 000000007A1C: D048004E 0002AB55
	v_add3_u32 v228, v85, v231, 1                              // 000000007A24: D1FF00E4 0207CF55
	v_cndmask_b32_e64 v33, v228, v230, s[78:79]                // 000000007A2C: D1000021 013BCDE4
	v_perm_b32 v80, v33, v32, s64                              // 000000007A34: D1ED0050 01024121
	v_cmp_u_f32_e64 s[78:79], v86, v86                         // 000000007A3C: D048004E 0002AD56
	v_add3_u32 v228, v86, v231, 1                              // 000000007A44: D1FF00E4 0207CF56
	v_cndmask_b32_e64 v32, v228, v230, s[78:79]                // 000000007A4C: D1000020 013BCDE4
	v_cmp_u_f32_e64 s[78:79], v87, v87                         // 000000007A54: D048004E 0002AF57
	v_add3_u32 v228, v87, v231, 1                              // 000000007A5C: D1FF00E4 0207CF57
	v_cndmask_b32_e64 v33, v228, v230, s[78:79]                // 000000007A64: D1000021 013BCDE4
	v_perm_b32 v81, v33, v32, s64                              // 000000007A6C: D1ED0051 01024121
	v_mfma_f32_16x16x16_bf16 v[200:203], v[126:127], v[166:167], v[200:203]// 000000007A74: D3E100C8 07234D7E
	v_mov_b32_dpp v18, v76 quad_perm:[1,0,3,2] row_mask:0xf bank_mask:0xf// 000000007A7C: 7E2402FA FF00B14C
	v_perm_b32 v52, v18, v76, v17                              // 000000007A84: D1ED0034 04469912
	v_mov_b32_dpp v18, v77 quad_perm:[1,0,3,2] row_mask:0xf bank_mask:0xf// 000000007A8C: 7E2402FA FF00B14D
	v_perm_b32 v53, v18, v77, v17                              // 000000007A94: D1ED0035 04469B12
	v_mov_b32_dpp v18, v78 quad_perm:[1,0,3,2] row_mask:0xf bank_mask:0xf// 000000007A9C: 7E2402FA FF00B14E
	v_perm_b32 v54, v18, v78, v17                              // 000000007AA4: D1ED0036 04469D12
	v_mfma_f32_16x16x16_bf16 v[204:207], v[128:129], v[166:167], v[204:207]// 000000007AAC: D3E100CC 07334D80
	v_mov_b32_dpp v18, v79 quad_perm:[1,0,3,2] row_mask:0xf bank_mask:0xf// 000000007AB4: 7E2402FA FF00B14F
	v_perm_b32 v55, v18, v79, v17                              // 000000007ABC: D1ED0037 04469F12
	v_mov_b32_dpp v18, v80 quad_perm:[1,0,3,2] row_mask:0xf bank_mask:0xf// 000000007AC4: 7E2402FA FF00B150
	v_perm_b32 v56, v18, v80, v17                              // 000000007ACC: D1ED0038 0446A112
	v_mov_b32_dpp v18, v81 quad_perm:[1,0,3,2] row_mask:0xf bank_mask:0xf// 000000007AD4: 7E2402FA FF00B151
	v_perm_b32 v57, v18, v81, v17                              // 000000007ADC: D1ED0039 0446A312
	v_mfma_f32_16x16x16_bf16 v[208:211], v[130:131], v[166:167], v[208:211]// 000000007AE4: D3E100D0 07434D82
	ds_write_b32 v20, v52 offset:17408                         // 000000007AEC: D81A4400 00003414
	ds_write_b32 v20, v53 offset:17952                         // 000000007AF4: D81A4620 00003514
	v_mfma_f32_16x16x16_bf16 v[212:215], v[124:125], v[168:169], v[212:215]// 000000007AFC: D3E100D4 0753517C
	v_subrev_f32_dpp v88, v177, v88 quad_perm:[0,0,0,0] row_mask:0xf bank_mask:0xf// 000000007B04: 06B0B0FA FF0000B1
	v_subrev_f32_dpp v89, v177, v89 quad_perm:[1,1,1,1] row_mask:0xf bank_mask:0xf// 000000007B0C: 06B2B2FA FF0055B1
	v_subrev_f32_dpp v90, v177, v90 quad_perm:[2,2,2,2] row_mask:0xf bank_mask:0xf// 000000007B14: 06B4B4FA FF00AAB1
	v_subrev_f32_dpp v91, v177, v91 quad_perm:[3,3,3,3] row_mask:0xf bank_mask:0xf// 000000007B1C: 06B6B6FA FF00FFB1
	v_subrev_f32_dpp v92, v177, v92 quad_perm:[0,0,0,0] row_mask:0xf bank_mask:0xf// 000000007B24: 06B8B8FA FF0000B1
	v_subrev_f32_dpp v93, v177, v93 quad_perm:[1,1,1,1] row_mask:0xf bank_mask:0xf// 000000007B2C: 06BABAFA FF0055B1
	v_mfma_f32_16x16x16_bf16 v[216:219], v[126:127], v[168:169], v[216:219]// 000000007B34: D3E100D8 0763517E
	ds_write_b32 v20, v54 offset:19712                         // 000000007B3C: D81A4D00 00003614
	ds_write_b32 v20, v55 offset:20256                         // 000000007B44: D81A4F20 00003714
	v_mfma_f32_16x16x16_bf16 v[220:223], v[128:129], v[168:169], v[220:223]// 000000007B4C: D3E100DC 07735180
	v_subrev_f32_dpp v94, v177, v94 quad_perm:[2,2,2,2] row_mask:0xf bank_mask:0xf// 000000007B54: 06BCBCFA FF00AAB1
	v_subrev_f32_dpp v95, v177, v95 quad_perm:[3,3,3,3] row_mask:0xf bank_mask:0xf// 000000007B5C: 06BEBEFA FF00FFB1
	v_subrev_f32_dpp v96, v177, v96 quad_perm:[0,0,0,0] row_mask:0xf bank_mask:0xf// 000000007B64: 06C0C0FA FF0000B1
	v_subrev_f32_dpp v97, v177, v97 quad_perm:[1,1,1,1] row_mask:0xf bank_mask:0xf// 000000007B6C: 06C2C2FA FF0055B1
	v_subrev_f32_dpp v98, v177, v98 quad_perm:[2,2,2,2] row_mask:0xf bank_mask:0xf// 000000007B74: 06C4C4FA FF00AAB1
	v_subrev_f32_dpp v99, v177, v99 quad_perm:[3,3,3,3] row_mask:0xf bank_mask:0xf// 000000007B7C: 06C6C6FA FF00FFB1
	v_mfma_f32_16x16x16_bf16 v[224:227], v[130:131], v[168:169], v[224:227]// 000000007B84: D3E100E0 07835182
	ds_write_b32 v20, v56 offset:22016                         // 000000007B8C: D81A5600 00003814
	ds_write_b32 v20, v57 offset:22560                         // 000000007B94: D81A5820 00003914
	v_mfma_f32_16x16x16_bf16 v[180:183], v[132:133], v[170:171], v[180:183]// 000000007B9C: D3E100B4 06D35584
	v_mul_f32_e32 v88, v64, v88                                // 000000007BA4: 0AB0B140
	v_mul_f32_e32 v89, v65, v89                                // 000000007BA8: 0AB2B341
	v_mul_f32_e32 v90, v66, v90                                // 000000007BAC: 0AB4B542
	v_mul_f32_e32 v91, v67, v91                                // 000000007BB0: 0AB6B743
	v_mul_f32_e32 v92, v68, v92                                // 000000007BB4: 0AB8B944
	v_mul_f32_e32 v93, v69, v93                                // 000000007BB8: 0ABABB45
	v_mfma_f32_16x16x16_bf16 v[184:187], v[134:135], v[170:171], v[184:187]// 000000007BBC: D3E100B8 06E35586
	v_mul_f32_e32 v94, v70, v94                                // 000000007BC4: 0ABCBD46
	v_mul_f32_e32 v95, v71, v95                                // 000000007BC8: 0ABEBF47
	v_mul_f32_e32 v96, v72, v96                                // 000000007BCC: 0AC0C148
	v_mul_f32_e32 v97, v73, v97                                // 000000007BD0: 0AC2C349
	v_mul_f32_e32 v98, v74, v98                                // 000000007BD4: 0AC4C54A
	v_mul_f32_e32 v99, v75, v99                                // 000000007BD8: 0AC6C74B
	v_mfma_f32_16x16x16_bf16 v[188:191], v[136:137], v[170:171], v[188:191]// 000000007BDC: D3E100BC 06F35588
	v_cmp_u_f32_e64 s[78:79], v88, v88                         // 000000007BE4: D048004E 0002B158
	v_add3_u32 v228, v88, v231, 1                              // 000000007BEC: D1FF00E4 0207CF58
	v_cndmask_b32_e64 v32, v228, v230, s[78:79]                // 000000007BF4: D1000020 013BCDE4
	v_cmp_u_f32_e64 s[78:79], v89, v89                         // 000000007BFC: D048004E 0002B359
	v_add3_u32 v228, v89, v231, 1                              // 000000007C04: D1FF00E4 0207CF59
	v_cndmask_b32_e64 v33, v228, v230, s[78:79]                // 000000007C0C: D1000021 013BCDE4
	v_perm_b32 v82, v33, v32, s64                              // 000000007C14: D1ED0052 01024121
	v_cmp_u_f32_e64 s[78:79], v90, v90                         // 000000007C1C: D048004E 0002B55A
	v_add3_u32 v228, v90, v231, 1                              // 000000007C24: D1FF00E4 0207CF5A
	v_cndmask_b32_e64 v32, v228, v230, s[78:79]                // 000000007C2C: D1000020 013BCDE4
	v_cmp_u_f32_e64 s[78:79], v91, v91                         // 000000007C34: D048004E 0002B75B
	v_add3_u32 v228, v91, v231, 1                              // 000000007C3C: D1FF00E4 0207CF5B
	v_cndmask_b32_e64 v33, v228, v230, s[78:79]                // 000000007C44: D1000021 013BCDE4
	v_perm_b32 v83, v33, v32, s64                              // 000000007C4C: D1ED0053 01024121
	v_cmp_u_f32_e64 s[78:79], v92, v92                         // 000000007C54: D048004E 0002B95C
	v_add3_u32 v228, v92, v231, 1                              // 000000007C5C: D1FF00E4 0207CF5C
	v_cndmask_b32_e64 v32, v228, v230, s[78:79]                // 000000007C64: D1000020 013BCDE4
	v_cmp_u_f32_e64 s[78:79], v93, v93                         // 000000007C6C: D048004E 0002BB5D
	v_add3_u32 v228, v93, v231, 1                              // 000000007C74: D1FF00E4 0207CF5D
	v_cndmask_b32_e64 v33, v228, v230, s[78:79]                // 000000007C7C: D1000021 013BCDE4
	v_perm_b32 v84, v33, v32, s64                              // 000000007C84: D1ED0054 01024121
	v_cmp_u_f32_e64 s[78:79], v94, v94                         // 000000007C8C: D048004E 0002BD5E
	v_add3_u32 v228, v94, v231, 1                              // 000000007C94: D1FF00E4 0207CF5E
	v_cndmask_b32_e64 v32, v228, v230, s[78:79]                // 000000007C9C: D1000020 013BCDE4
	v_cmp_u_f32_e64 s[78:79], v95, v95                         // 000000007CA4: D048004E 0002BF5F
	v_add3_u32 v228, v95, v231, 1                              // 000000007CAC: D1FF00E4 0207CF5F
	v_cndmask_b32_e64 v33, v228, v230, s[78:79]                // 000000007CB4: D1000021 013BCDE4
	v_perm_b32 v85, v33, v32, s64                              // 000000007CBC: D1ED0055 01024121
	v_cmp_u_f32_e64 s[78:79], v96, v96                         // 000000007CC4: D048004E 0002C160
	v_add3_u32 v228, v96, v231, 1                              // 000000007CCC: D1FF00E4 0207CF60
	v_cndmask_b32_e64 v32, v228, v230, s[78:79]                // 000000007CD4: D1000020 013BCDE4
	v_cmp_u_f32_e64 s[78:79], v97, v97                         // 000000007CDC: D048004E 0002C361
	v_add3_u32 v228, v97, v231, 1                              // 000000007CE4: D1FF00E4 0207CF61
	v_cndmask_b32_e64 v33, v228, v230, s[78:79]                // 000000007CEC: D1000021 013BCDE4
	v_perm_b32 v86, v33, v32, s64                              // 000000007CF4: D1ED0056 01024121
	v_cmp_u_f32_e64 s[78:79], v98, v98                         // 000000007CFC: D048004E 0002C562
	v_add3_u32 v228, v98, v231, 1                              // 000000007D04: D1FF00E4 0207CF62
	v_cndmask_b32_e64 v32, v228, v230, s[78:79]                // 000000007D0C: D1000020 013BCDE4
	v_cmp_u_f32_e64 s[78:79], v99, v99                         // 000000007D14: D048004E 0002C763
	v_add3_u32 v228, v99, v231, 1                              // 000000007D1C: D1FF00E4 0207CF63
	v_cndmask_b32_e64 v33, v228, v230, s[78:79]                // 000000007D24: D1000021 013BCDE4
	v_perm_b32 v87, v33, v32, s64                              // 000000007D2C: D1ED0057 01024121
	v_mfma_f32_16x16x16_bf16 v[192:195], v[138:139], v[170:171], v[192:195]// 000000007D34: D3E100C0 0703558A
	v_mov_b32_dpp v18, v82 quad_perm:[1,0,3,2] row_mask:0xf bank_mask:0xf// 000000007D3C: 7E2402FA FF00B152
	v_perm_b32 v58, v18, v82, v17                              // 000000007D44: D1ED003A 0446A512
	v_mov_b32_dpp v18, v83 quad_perm:[1,0,3,2] row_mask:0xf bank_mask:0xf// 000000007D4C: 7E2402FA FF00B153
	v_perm_b32 v59, v18, v83, v17                              // 000000007D54: D1ED003B 0446A712
	v_mov_b32_dpp v18, v84 quad_perm:[1,0,3,2] row_mask:0xf bank_mask:0xf// 000000007D5C: 7E2402FA FF00B154
	v_perm_b32 v60, v18, v84, v17                              // 000000007D64: D1ED003C 0446A912
	v_mfma_f32_16x16x16_bf16 v[196:199], v[132:133], v[172:173], v[196:199]// 000000007D6C: D3E100C4 07135984
	v_mov_b32_dpp v18, v85 quad_perm:[1,0,3,2] row_mask:0xf bank_mask:0xf// 000000007D74: 7E2402FA FF00B155
	v_perm_b32 v61, v18, v85, v17                              // 000000007D7C: D1ED003D 0446AB12
	v_mov_b32_dpp v18, v86 quad_perm:[1,0,3,2] row_mask:0xf bank_mask:0xf// 000000007D84: 7E2402FA FF00B156
	v_perm_b32 v62, v18, v86, v17                              // 000000007D8C: D1ED003E 0446AD12
	v_mov_b32_dpp v18, v87 quad_perm:[1,0,3,2] row_mask:0xf bank_mask:0xf// 000000007D94: 7E2402FA FF00B157
	v_perm_b32 v63, v18, v87, v17                              // 000000007D9C: D1ED003F 0446AF12
	v_mfma_f32_16x16x16_bf16 v[200:203], v[134:135], v[172:173], v[200:203]// 000000007DA4: D3E100C8 07235986
	ds_write_b32 v20, v58 offset:24320                         // 000000007DAC: D81A5F00 00003A14
	ds_write_b32 v20, v59 offset:24864                         // 000000007DB4: D81A6120 00003B14
	v_mfma_f32_16x16x16_bf16 v[204:207], v[136:137], v[172:173], v[204:207]// 000000007DBC: D3E100CC 07335988
	v_mfma_f32_16x16x16_bf16 v[208:211], v[138:139], v[172:173], v[208:211]// 000000007DC4: D3E100D0 0743598A
	ds_write_b32 v20, v60 offset:26624                         // 000000007DCC: D81A6800 00003C14
	ds_write_b32 v20, v61 offset:27168                         // 000000007DD4: D81A6A20 00003D14
	ds_write_b32 v20, v62 offset:28928                         // 000000007DDC: D81A7100 00003E14
	ds_write_b32 v20, v63 offset:29472                         // 000000007DE4: D81A7320 00003F14
	v_mfma_f32_16x16x16_bf16 v[212:215], v[132:133], v[174:175], v[212:215]// 000000007DEC: D3E100D4 07535D84
	v_mfma_f32_16x16x16_bf16 v[216:219], v[134:135], v[174:175], v[216:219]// 000000007DF4: D3E100D8 07635D86
	ds_write_b32 v15, v100 offset:4352                         // 000000007DFC: D81A1100 0000640F
	ds_write_b32 v15, v101 offset:5408                         // 000000007E04: D81A1520 0000650F
	v_mfma_f32_16x16x16_bf16 v[220:223], v[136:137], v[174:175], v[220:223]// 000000007E0C: D3E100DC 07735D88
	s_nop 0                                                    // 000000007E14: BF800000
	s_nop 0                                                    // 000000007E18: BF800000
	s_nop 0                                                    // 000000007E1C: BF800000
	v_mfma_f32_16x16x16_bf16 v[224:227], v[138:139], v[174:175], v[224:227]// 000000007E20: D3E100E0 07835D8A
	ds_write_b32 v15, v102 offset:6528                         // 000000007E28: D81A1980 0000660F
	ds_write_b32 v15, v103 offset:7584                         // 000000007E30: D81A1DA0 0000670F
	s_barrier                                                  // 000000007E38: BF8A0000
	v_mfma_f32_16x16x16_bf16 a[112:115], a[96:97], v[76:77], a[112:115]// 000000007E3C: D3E18070 0DC29960
	buffer_atomic_add_f32 v156, v6, s[32:35], 0 idxen          // 000000007E44: E1342000 80089C06
	v_mfma_f32_16x16x16_bf16 a[116:119], a[98:99], v[76:77], a[116:119]// 000000007E4C: D3E18074 0DD29962
	ds_read_b32 v140, v23 offset:39424                         // 000000007E54: D86C9A00 8C000017
	ds_read_b32 v144, v23 offset:39488                         // 000000007E5C: D86C9A40 90000017
	ds_read_b32 v176, v23 offset:39680                         // 000000007E64: D86C9B00 B0000017
	ds_read_b32 v177, v23 offset:39744                         // 000000007E6C: D86C9B40 B1000017
	v_mfma_f32_16x16x16_bf16 a[120:123], a[100:101], v[76:77], a[120:123]// 000000007E74: D3E18078 0DE29964
	s_waitcnt lgkmcnt(8)                                       // 000000007E7C: BF8CC87F
	s_barrier                                                  // 000000007E80: BF8A0000
	v_mfma_f32_16x16x16_bf16 a[124:127], a[102:103], v[76:77], a[124:127]// 000000007E84: D3E1807C 0DF29966
	ds_read_b128 v[52:55], v19 offset:17408                    // 000000007E8C: D9FE4400 34000013
	v_mfma_f32_16x16x16_bf16 a[128:131], a[96:97], v[78:79], a[128:131]// 000000007E94: D3E18080 0E029D60
	v_mfma_f32_16x16x16_bf16 a[132:135], a[98:99], v[78:79], a[132:135]// 000000007E9C: D3E18084 0E129D62
	ds_read_b128 v[56:59], v19 offset:18560                    // 000000007EA4: D9FE4880 38000013
	v_mfma_f32_16x16x16_bf16 a[136:139], a[100:101], v[78:79], a[136:139]// 000000007EAC: D3E18088 0E229D64
	buffer_atomic_add_f32 v157, v7, s[32:35], 0 idxen          // 000000007EB4: E1342000 80089D07
	v_mfma_f32_16x16x16_bf16 a[140:143], a[102:103], v[78:79], a[140:143]// 000000007EBC: D3E1808C 0E329D66
	ds_read_b128 v[60:63], v19 offset:19712                    // 000000007EC4: D9FE4D00 3C000013
	v_mfma_f32_16x16x16_bf16 a[144:147], a[96:97], v[80:81], a[144:147]// 000000007ECC: D3E18090 0E42A160
	v_mfma_f32_16x16x16_bf16 a[148:151], a[98:99], v[80:81], a[148:151]// 000000007ED4: D3E18094 0E52A162
	ds_read_b128 v[64:67], v19 offset:20864                    // 000000007EDC: D9FE5180 40000013
	v_mfma_f32_16x16x16_bf16 a[152:155], a[100:101], v[80:81], a[152:155]// 000000007EE4: D3E18098 0E62A164
	v_mfma_f32_16x16x16_bf16 a[156:159], a[102:103], v[80:81], a[156:159]// 000000007EEC: D3E1809C 0E72A166
	ds_read_b128 v[68:71], v19 offset:22016                    // 000000007EF4: D9FE5600 44000013
	v_mfma_f32_16x16x16_bf16 a[112:115], a[104:105], v[82:83], a[112:115]// 000000007EFC: D3E18070 0DC2A568
	buffer_atomic_add_f32 v158, v6, s[32:35], 0 idxen offset:128// 000000007F04: E1342080 80089E06
	v_mfma_f32_16x16x16_bf16 a[116:119], a[106:107], v[82:83], a[116:119]// 000000007F0C: D3E18074 0DD2A56A
	ds_read_b128 v[72:75], v19 offset:23168                    // 000000007F14: D9FE5A80 48000013
	v_mfma_f32_16x16x16_bf16 a[120:123], a[108:109], v[82:83], a[120:123]// 000000007F1C: D3E18078 0DE2A56C
	v_mfma_f32_16x16x16_bf16 a[124:127], a[110:111], v[82:83], a[124:127]// 000000007F24: D3E1807C 0DF2A56E
	ds_write_b32 v15, v104 offset:13056                        // 000000007F2C: D81A3300 0000680F
	v_mfma_f32_16x16x16_bf16 a[128:131], a[104:105], v[84:85], a[128:131]// 000000007F34: D3E18080 0E02A968
	v_mfma_f32_16x16x16_bf16 a[132:135], a[106:107], v[84:85], a[132:135]// 000000007F3C: D3E18084 0E12A96A
	ds_write_b32 v15, v105 offset:14112                        // 000000007F44: D81A3720 0000690F
	v_mfma_f32_16x16x16_bf16 a[136:139], a[108:109], v[84:85], a[136:139]// 000000007F4C: D3E18088 0E22A96C
	buffer_atomic_add_f32 v159, v7, s[32:35], 0 idxen offset:128// 000000007F54: E1342080 80089F07
	v_mfma_f32_16x16x16_bf16 a[140:143], a[110:111], v[84:85], a[140:143]// 000000007F5C: D3E1808C 0E32A96E
	ds_write_b32 v15, v106 offset:15232                        // 000000007F64: D81A3B80 00006A0F
	v_mfma_f32_16x16x16_bf16 a[144:147], a[104:105], v[86:87], a[144:147]// 000000007F6C: D3E18090 0E42AD68
	v_mfma_f32_16x16x16_bf16 a[148:151], a[106:107], v[86:87], a[148:151]// 000000007F74: D3E18094 0E52AD6A
	ds_write_b32 v15, v107 offset:16288                        // 000000007F7C: D81A3FA0 00006B0F
	v_mfma_f32_16x16x16_bf16 a[152:155], a[108:109], v[86:87], a[152:155]// 000000007F84: D3E18098 0E62AD6C
	v_mfma_f32_16x16x16_bf16 a[156:159], a[110:111], v[86:87], a[156:159]// 000000007F8C: D3E1809C 0E72AD6E
	s_waitcnt vmcnt(8) lgkmcnt(4)                              // 000000007F94: BF8C0478
	s_barrier                                                  // 000000007F98: BF8A0000
	v_mfma_f32_16x16x16_bf16 v[148:151], v[52:53], a[24:25], 0 // 000000007F9C: D3E10094 12023134
	v_mul_f32_e32 v140, s48, v140                              // 000000007FA4: 0B191830
	v_mul_f32_e32 v144, s48, v144                              // 000000007FA8: 0B212030
	s_nop 0                                                    // 000000007FAC: BF800000
	v_mfma_f32_16x16x16_bf16 v[148:151], v[54:55], a[28:29], v[148:151]// 000000007FB0: D3E10094 16523936
	ds_read_b128 a[96:99], v12                                 // 000000007FB8: DBFE0000 6000000C
	buffer_load_dword v36, v1, s[8:11], 0 idxen                // 000000007FC0: E0502000 80022401
	v_mfma_f32_16x16x16_bf16 v[148:151], v[56:57], a[32:33], v[148:151]// 000000007FC8: D3E10094 16524138
	v_mfma_f32_16x16x16_bf16 v[148:151], v[58:59], a[36:37], v[148:151]// 000000007FD0: D3E10094 1652493A
	ds_read_b128 a[100:103], v12 offset:512                    // 000000007FD8: DBFE0200 6400000C
	buffer_load_dword v37, v2, s[8:11], 0 idxen                // 000000007FE0: E0502000 80022502
	v_mfma_f32_16x16x16_bf16 v[148:151], v[60:61], a[40:41], v[148:151]// 000000007FE8: D3E10094 1652513C
	v_perm_b32 v100, v41, v40, s63                             // 000000007FF0: D1ED0064 00FE5129
	v_perm_b32 v101, v41, v40, s64                             // 000000007FF8: D1ED0065 01025129
	v_mfma_f32_16x16x16_bf16 v[148:151], v[62:63], a[44:45], v[148:151]// 000000008000: D3E10094 1652593E
	ds_read_b128 a[104:107], v12 offset:2176                   // 000000008008: DBFE0880 6800000C
	buffer_load_dword v38, v3, s[8:11], 0 idxen                // 000000008010: E0502000 80022603
	v_mfma_f32_16x16x16_bf16 v[148:151], v[64:65], a[48:49], v[148:151]// 000000008018: D3E10094 16526140
	v_perm_b32 v102, v43, v42, s63                             // 000000008020: D1ED0066 00FE552B
	v_perm_b32 v103, v43, v42, s64                             // 000000008028: D1ED0067 0102552B
	v_mfma_f32_16x16x16_bf16 v[148:151], v[66:67], a[52:53], v[148:151]// 000000008030: D3E10094 16526942
	ds_read_b128 a[108:111], v12 offset:2688                   // 000000008038: DBFE0A80 6C00000C
	buffer_load_dword v39, v4, s[8:11], 0 idxen                // 000000008040: E0502000 80022704
	v_mfma_f32_16x16x16_bf16 v[148:151], v[68:69], a[56:57], v[148:151]// 000000008048: D3E10094 16527144
	v_perm_b32 v104, v49, v48, s63                             // 000000008050: D1ED0068 00FE6131
	v_perm_b32 v105, v49, v48, s64                             // 000000008058: D1ED0069 01026131
	v_mfma_f32_16x16x16_bf16 v[148:151], v[70:71], a[60:61], v[148:151]// 000000008060: D3E10094 16527946
	ds_read_b128 v[108:111], v12 offset:8704                   // 000000008068: D9FE2200 6C00000C
	buffer_load_dword v44, v232, s[20:23], 0 idxen             // 000000008070: E0502000 80052CE8
	v_mfma_f32_16x16x16_bf16 v[148:151], v[72:73], a[64:65], v[148:151]// 000000008078: D3E10094 16528148
	v_perm_b32 v106, v51, v50, s63                             // 000000008080: D1ED006A 00FE6533
	v_perm_b32 v107, v51, v50, s64                             // 000000008088: D1ED006B 01026533
	v_mfma_f32_16x16x16_bf16 v[148:151], v[74:75], a[68:69], v[148:151]// 000000008090: D3E10094 1652894A
	ds_read_b128 v[112:115], v12 offset:9216                   // 000000008098: D9FE2400 7000000C
	buffer_load_dword v45, v233, s[20:23], 0 idxen             // 0000000080A0: E0502000 80052DE9
	v_mfma_f32_16x16x16_bf16 v[152:155], v[52:53], a[26:27], 0 // 0000000080A8: D3E10098 12023534
	v_mov_b32_dpp v143, v140 quad_perm:[3,3,3,3] row_mask:0xf bank_mask:0xf// 0000000080B0: 7F1E02FA FF00FF8C
	v_mov_b32_dpp v142, v140 quad_perm:[2,2,2,2] row_mask:0xf bank_mask:0xf// 0000000080B8: 7F1C02FA FF00AA8C
	v_mov_b32_dpp v141, v140 quad_perm:[1,1,1,1] row_mask:0xf bank_mask:0xf// 0000000080C0: 7F1A02FA FF00558C
	v_mov_b32_dpp v140, v140 quad_perm:[0,0,0,0] row_mask:0xf bank_mask:0xf// 0000000080C8: 7F1802FA FF00008C
	v_mfma_f32_16x16x16_bf16 v[152:155], v[54:55], a[30:31], v[152:155]// 0000000080D0: D3E10098 16623D36
	ds_read_b128 v[116:119], v12 offset:10880                  // 0000000080D8: D9FE2A80 7400000C
	buffer_load_dword v46, v234, s[20:23], 0 idxen             // 0000000080E0: E0502000 80052EEA
	v_mfma_f32_16x16x16_bf16 v[152:155], v[56:57], a[34:35], v[152:155]// 0000000080E8: D3E10098 16624538
	v_mov_b32_dpp v147, v144 quad_perm:[3,3,3,3] row_mask:0xf bank_mask:0xf// 0000000080F0: 7F2602FA FF00FF90
	v_mov_b32_dpp v146, v144 quad_perm:[2,2,2,2] row_mask:0xf bank_mask:0xf// 0000000080F8: 7F2402FA FF00AA90
	v_mov_b32_dpp v145, v144 quad_perm:[1,1,1,1] row_mask:0xf bank_mask:0xf// 000000008100: 7F2202FA FF005590
	v_mov_b32_dpp v144, v144 quad_perm:[0,0,0,0] row_mask:0xf bank_mask:0xf// 000000008108: 7F2002FA FF000090
	s_add_u32 s60, 0x80, s59                                   // 000000008110: 803C3BFF 00000080
	v_mfma_f32_16x16x16_bf16 v[152:155], v[58:59], a[38:39], v[152:155]// 000000008118: D3E10098 16624D3A
	ds_read_b128 v[120:123], v12 offset:11392                  // 000000008120: D9FE2C80 7800000C
	buffer_load_dword v47, v235, s[20:23], 0 idxen             // 000000008128: E0502000 80052FEB
	v_mfma_f32_16x16x16_bf16 v[152:155], v[60:61], a[42:43], v[152:155]// 000000008130: D3E10098 1662553C
	s_cmp_lt_u32 s60, s58                                      // 000000008138: BF0A3A3C
	s_cselect_b32 s68, s68, 0                                  // 00000000813C: 85448044
	s_cselect_b32 s100, s100, 0                                // 000000008140: 85648064
	s_cselect_b32 s69, s69, 0                                  // 000000008144: 85458045
	v_mfma_f32_16x16x16_bf16 v[152:155], v[62:63], a[46:47], v[152:155]// 000000008148: D3E10098 16625D3E
	buffer_load_dword v11, s[24:27], 0 idxen lds               // 000000008150: E0512000 8006000B
	v_mfma_f32_16x16x16_bf16 v[152:155], v[64:65], a[50:51], v[152:155]// 000000008158: D3E10098 16626540
	v_add_u32_e32 v1, s68, v1                                  // 000000008160: 68020244
	v_add_u32_e32 v2, s68, v2                                  // 000000008164: 68040444
	;; [unrolled: 1-line block ×3, first 2 shown]
	v_add_u32_e32 v4, s68, v4                                  // 00000000816C: 68080844
	v_mfma_f32_16x16x16_bf16 v[152:155], v[66:67], a[54:55], v[152:155]// 000000008170: D3E10098 16626D42
	v_add_u32_e32 v232, s100, v232                             // 000000008178: 69D1D064
	v_add_u32_e32 v233, s100, v233                             // 00000000817C: 69D3D264
	v_add_u32_e32 v234, s100, v234                             // 000000008180: 69D5D464
	v_add_u32_e32 v235, s100, v235                             // 000000008184: 69D7D664
	v_mfma_f32_16x16x16_bf16 v[152:155], v[68:69], a[58:59], v[152:155]// 000000008188: D3E10098 16627544
	s_mov_b32 m0, s81                                          // 000000008190: BEFC0051
	v_add_u32_e32 v11, s69, v11                                // 000000008194: 68161645
	v_mfma_f32_16x16x16_bf16 v[152:155], v[70:71], a[62:63], v[152:155]// 000000008198: D3E10098 16627D46
	s_cmp_ge_u32 s59, s73                                      // 0000000081A0: BF09493B
	s_cselect_b32 s66, s67, s66                                // 0000000081A4: 85424243
	v_mfma_f32_16x16x16_bf16 v[152:155], v[72:73], a[66:67], v[152:155]// 0000000081A8: D3E10098 16628548
	s_addk_i32 s59, 0x20                                       // 0000000081B0: B73B0020
	s_nop 0                                                    // 0000000081B4: BF800000
	s_cmp_lt_i32 s59, s58                                      // 0000000081B8: BF043A3B
	v_mfma_f32_16x16x16_bf16 v[152:155], v[74:75], a[70:71], v[152:155]// 0000000081BC: D3E10098 16628D4A
	s_cbranch_scc0 label_1105                                  // 0000000081C4: BF840001
	s_branch label_065E                                        // 0000000081C8: BF82F56B

00000000000081cc <label_1105>:
	s_nop 0                                                    // 0000000081CC: BF800000
	s_nop 0                                                    // 0000000081D0: BF800000
	s_branch label_1BAF                                        // 0000000081D4: BF820A95

00000000000081d8 <label_1108>:
	s_waitcnt lgkmcnt(4)                                       // 0000000081D8: BF8CC47F
	s_barrier                                                  // 0000000081DC: BF8A0000
	v_mfma_f32_16x16x16_bf16 v[52:55], a[96:97], a[0:1], 0     // 0000000081E0: D3E10034 1A020160
	v_mul_f32_e32 v148, s47, v148                              // 0000000081E8: 0B29282F
	v_mul_f32_e32 v149, s47, v149                              // 0000000081EC: 0B2B2A2F
	v_mfma_f32_16x16x16_bf16 v[52:55], a[98:99], a[2:3], v[52:55]// 0000000081F0: D3E10034 1CD20562
	ds_write_b32 v13, v48 offset:8704                          // 0000000081F8: D81A2200 0000300D
	ds_write_b32 v13, v49 offset:9760                          // 000000008200: D81A2620 0000310D
	v_mfma_f32_16x16x16_bf16 v[52:55], a[100:101], a[4:5], v[52:55]// 000000008208: D3E10034 1CD20964
	v_mul_f32_e32 v150, s47, v150                              // 000000008210: 0B2D2C2F
	v_mul_f32_e32 v151, s47, v151                              // 000000008214: 0B2F2E2F
	v_mfma_f32_16x16x16_bf16 v[52:55], a[102:103], a[6:7], v[52:55]// 000000008218: D3E10034 1CD20D66
	ds_write_b32 v13, v50 offset:10880                         // 000000008220: D81A2A80 0000320D
	ds_write_b32 v13, v51 offset:11936                         // 000000008228: D81A2EA0 0000330D
	v_mfma_f32_16x16x16_bf16 v[56:59], a[96:97], a[8:9], 0     // 000000008230: D3E10038 1A021160
	v_mul_f32_e32 v152, s47, v152                              // 000000008238: 0B31302F
	v_mul_f32_e32 v153, s47, v153                              // 00000000823C: 0B33322F
	v_mfma_f32_16x16x16_bf16 v[56:59], a[98:99], a[10:11], v[56:59]// 000000008240: D3E10038 1CE21562
	ds_write_b64 v22, v[148:149] offset:31232                  // 000000008248: D89A7A00 00009416
	v_mfma_f32_16x16x16_bf16 v[56:59], a[100:101], a[12:13], v[56:59]// 000000008250: D3E10038 1CE21964
	v_mul_f32_e32 v154, s47, v154                              // 000000008258: 0B35342F
	v_mul_f32_e32 v155, s47, v155                              // 00000000825C: 0B37362F
	v_mfma_f32_16x16x16_bf16 v[56:59], a[102:103], a[14:15], v[56:59]// 000000008260: D3E10038 1CE21D66
	ds_write_b64 v22, v[150:151] offset:31744                  // 000000008268: D89A7C00 00009616
	v_mfma_f32_16x16x16_bf16 v[60:63], a[96:97], a[16:17], 0   // 000000008270: D3E1003C 1A022160
	buffer_atomic_add_f32 v160, v8, s[32:35], 0 idxen          // 000000008278: E1342000 8008A008
	v_mfma_f32_16x16x16_bf16 v[60:63], a[98:99], a[18:19], v[60:63]// 000000008280: D3E1003C 1CF22562
	ds_write_b64 v22, v[152:153] offset:32256                  // 000000008288: D89A7E00 00009816
	v_mfma_f32_16x16x16_bf16 v[60:63], a[100:101], a[20:21], v[60:63]// 000000008290: D3E1003C 1CF22964
	v_mfma_f32_16x16x16_bf16 v[60:63], a[102:103], a[22:23], v[60:63]// 000000008298: D3E1003C 1CF22D66
	ds_write_b64 v22, v[154:155] offset:32768                  // 0000000082A0: D89A8000 00009A16
	v_mfma_f32_16x16x16_bf16 v[64:67], a[104:105], a[0:1], 0   // 0000000082A8: D3E10040 1A020168
	buffer_atomic_add_f32 v161, v9, s[32:35], 0 idxen          // 0000000082B0: E1342000 8008A109
	v_mfma_f32_16x16x16_bf16 v[64:67], a[106:107], a[2:3], v[64:67]// 0000000082B8: D3E10040 1D02056A
	ds_read_b128 v[124:127], v14 offset:13056                  // 0000000082C0: D9FE3300 7C00000E
	ds_write_b32 v13, v40                                      // 0000000082C8: D81A0000 0000280D
	v_mfma_f32_16x16x16_bf16 v[64:67], a[108:109], a[4:5], v[64:67]// 0000000082D0: D3E10040 1D02096C
	v_mfma_f32_16x16x16_bf16 v[64:67], a[110:111], a[6:7], v[64:67]// 0000000082D8: D3E10040 1D020D6E
	v_mfma_f32_16x16x16_bf16 v[68:71], a[104:105], a[8:9], 0   // 0000000082E0: D3E10044 1A021168
	ds_read_b128 v[128:131], v14 offset:13568                  // 0000000082E8: D9FE3500 8000000E
	ds_write_b32 v13, v41 offset:1056                          // 0000000082F0: D81A0420 0000290D
	v_mfma_f32_16x16x16_bf16 v[68:71], a[106:107], a[10:11], v[68:71]// 0000000082F8: D3E10044 1D12156A
	buffer_atomic_add_f32 v162, v8, s[32:35], 0 idxen offset:128// 000000008300: E1342080 8008A208
	v_mfma_f32_16x16x16_bf16 v[68:71], a[108:109], a[12:13], v[68:71]// 000000008308: D3E10044 1D12196C
	v_mfma_f32_16x16x16_bf16 v[68:71], a[110:111], a[14:15], v[68:71]// 000000008310: D3E10044 1D121D6E
	ds_read_b128 v[132:135], v14 offset:15232                  // 000000008318: D9FE3B80 8400000E
	ds_write_b32 v13, v42 offset:2176                          // 000000008320: D81A0880 00002A0D
	v_mfma_f32_16x16x16_bf16 v[72:75], a[104:105], a[16:17], 0 // 000000008328: D3E10048 1A022168
	v_mfma_f32_16x16x16_bf16 v[72:75], a[106:107], a[18:19], v[72:75]// 000000008330: D3E10048 1D22256A
	buffer_atomic_add_f32 v163, v9, s[32:35], 0 idxen offset:128// 000000008338: E1342080 8008A309
	v_mfma_f32_16x16x16_bf16 v[72:75], a[108:109], a[20:21], v[72:75]// 000000008340: D3E10048 1D22296C
	ds_read_b128 v[136:139], v14 offset:15744                  // 000000008348: D9FE3D80 8800000E
	ds_write_b32 v13, v43 offset:3232                          // 000000008350: D81A0CA0 00002B0D
	v_mfma_f32_16x16x16_bf16 v[72:75], a[110:111], a[22:23], v[72:75]// 000000008358: D3E10048 1D222D6E
	s_cmp_lt_i32 s74, 12                                       // 000000008360: BF048C4A
	s_cbranch_scc0 label_1252                                  // 000000008364: BF8400E6
	s_mov_b32 s60, 0xffe0fffe                                  // 000000008368: BEBC00FF FFE0FFFE
	s_mov_b32 s61, 0xe000fe00                                  // 000000008370: BEBD00FF E000FE00
	s_nop 0                                                    // 000000008378: BF800000
	s_add_u32 s62, 0, s46                                      // 00000000837C: 803E2E80
	s_cmp_lt_i32 s74, s62                                      // 000000008380: BF043E4A
	s_cbranch_scc1 label_119C                                  // 000000008384: BF850028
	s_cmp_eq_i32 s74, s62                                      // 000000008388: BF003E4A
	s_cbranch_scc1 label_1181                                  // 00000000838C: BF85000B
	s_add_u32 s62, 4, s46                                      // 000000008390: 803E2E84
	s_cmp_lt_i32 s74, s62                                      // 000000008394: BF043E4A
	s_cbranch_scc1 label_11BC                                  // 000000008398: BF850043
	s_cmp_eq_i32 s74, s62                                      // 00000000839C: BF003E4A
	s_cbranch_scc1 label_11A1                                  // 0000000083A0: BF850026
	s_add_u32 s62, 8, s46                                      // 0000000083A4: 803E2E88
	s_cmp_lt_i32 s74, s62                                      // 0000000083A8: BF043E4A
	s_cbranch_scc1 label_11DC                                  // 0000000083AC: BF85005E
	s_cmp_eq_i32 s74, s62                                      // 0000000083B0: BF003E4A
	s_cbranch_scc1 label_11C1                                  // 0000000083B4: BF850041
	s_branch label_11E1                                        // 0000000083B8: BF820060

00000000000083bc <label_1181>:
	v_cndmask_b32_e64 v52, v52, v178, s[60:61]                 // 0000000083BC: D1000034 00F36534
	s_lshl_b32 s60, s60, 1                                     // 0000000083C4: 8E3C813C
	s_lshl_b32 s61, s61, 1                                     // 0000000083C8: 8E3D813D
	s_and_b32 s60, 0xfffeffff, s60                             // 0000000083CC: 863C3CFF FFFEFFFF
	s_and_b32 s61, 0xfffeffff, s61                             // 0000000083D4: 863D3DFF FFFEFFFF
	v_cndmask_b32_e64 v53, v53, v178, s[60:61]                 // 0000000083DC: D1000035 00F36535
	s_lshl_b32 s60, s60, 1                                     // 0000000083E4: 8E3C813C
	s_lshl_b32 s61, s61, 1                                     // 0000000083E8: 8E3D813D
	s_and_b32 s60, 0xfffeffff, s60                             // 0000000083EC: 863C3CFF FFFEFFFF
	s_and_b32 s61, 0xfffeffff, s61                             // 0000000083F4: 863D3DFF FFFEFFFF
	v_cndmask_b32_e64 v54, v54, v178, s[60:61]                 // 0000000083FC: D1000036 00F36536
	s_lshl_b32 s60, s60, 1                                     // 000000008404: 8E3C813C
	s_lshl_b32 s61, s61, 1                                     // 000000008408: 8E3D813D
	s_and_b32 s60, 0xfffeffff, s60                             // 00000000840C: 863C3CFF FFFEFFFF
	s_and_b32 s61, 0xfffeffff, s61                             // 000000008414: 863D3DFF FFFEFFFF
	v_cndmask_b32_e64 v55, v55, v178, s[60:61]                 // 00000000841C: D1000037 00F36537
	s_branch label_11BC                                        // 000000008424: BF820020

0000000000008428 <label_119C>:
	v_mov_b32_e32 v52, v178                                    // 000000008428: 7E6803B2
	v_mov_b32_e32 v53, v178                                    // 00000000842C: 7E6A03B2
	v_mov_b32_e32 v54, v178                                    // 000000008430: 7E6C03B2
	v_mov_b32_e32 v55, v178                                    // 000000008434: 7E6E03B2
	s_branch label_11BC                                        // 000000008438: BF82001B

000000000000843c <label_11A1>:
	v_cndmask_b32_e64 v56, v56, v178, s[60:61]                 // 00000000843C: D1000038 00F36538
	s_lshl_b32 s60, s60, 1                                     // 000000008444: 8E3C813C
	s_lshl_b32 s61, s61, 1                                     // 000000008448: 8E3D813D
	s_and_b32 s60, 0xfffeffff, s60                             // 00000000844C: 863C3CFF FFFEFFFF
	s_and_b32 s61, 0xfffeffff, s61                             // 000000008454: 863D3DFF FFFEFFFF
	v_cndmask_b32_e64 v57, v57, v178, s[60:61]                 // 00000000845C: D1000039 00F36539
	s_lshl_b32 s60, s60, 1                                     // 000000008464: 8E3C813C
	s_lshl_b32 s61, s61, 1                                     // 000000008468: 8E3D813D
	s_and_b32 s60, 0xfffeffff, s60                             // 00000000846C: 863C3CFF FFFEFFFF
	s_and_b32 s61, 0xfffeffff, s61                             // 000000008474: 863D3DFF FFFEFFFF
	v_cndmask_b32_e64 v58, v58, v178, s[60:61]                 // 00000000847C: D100003A 00F3653A
	s_lshl_b32 s60, s60, 1                                     // 000000008484: 8E3C813C
	s_lshl_b32 s61, s61, 1                                     // 000000008488: 8E3D813D
	s_and_b32 s60, 0xfffeffff, s60                             // 00000000848C: 863C3CFF FFFEFFFF
	s_and_b32 s61, 0xfffeffff, s61                             // 000000008494: 863D3DFF FFFEFFFF
	v_cndmask_b32_e64 v59, v59, v178, s[60:61]                 // 00000000849C: D100003B 00F3653B
	s_branch label_11DC                                        // 0000000084A4: BF820020

00000000000084a8 <label_11BC>:
	v_mov_b32_e32 v56, v178                                    // 0000000084A8: 7E7003B2
	v_mov_b32_e32 v57, v178                                    // 0000000084AC: 7E7203B2
	v_mov_b32_e32 v58, v178                                    // 0000000084B0: 7E7403B2
	v_mov_b32_e32 v59, v178                                    // 0000000084B4: 7E7603B2
	s_branch label_11DC                                        // 0000000084B8: BF82001B

00000000000084bc <label_11C1>:
	v_cndmask_b32_e64 v60, v60, v178, s[60:61]                 // 0000000084BC: D100003C 00F3653C
	s_lshl_b32 s60, s60, 1                                     // 0000000084C4: 8E3C813C
	s_lshl_b32 s61, s61, 1                                     // 0000000084C8: 8E3D813D
	s_and_b32 s60, 0xfffeffff, s60                             // 0000000084CC: 863C3CFF FFFEFFFF
	s_and_b32 s61, 0xfffeffff, s61                             // 0000000084D4: 863D3DFF FFFEFFFF
	v_cndmask_b32_e64 v61, v61, v178, s[60:61]                 // 0000000084DC: D100003D 00F3653D
	s_lshl_b32 s60, s60, 1                                     // 0000000084E4: 8E3C813C
	s_lshl_b32 s61, s61, 1                                     // 0000000084E8: 8E3D813D
	s_and_b32 s60, 0xfffeffff, s60                             // 0000000084EC: 863C3CFF FFFEFFFF
	s_and_b32 s61, 0xfffeffff, s61                             // 0000000084F4: 863D3DFF FFFEFFFF
	v_cndmask_b32_e64 v62, v62, v178, s[60:61]                 // 0000000084FC: D100003E 00F3653E
	s_lshl_b32 s60, s60, 1                                     // 000000008504: 8E3C813C
	s_lshl_b32 s61, s61, 1                                     // 000000008508: 8E3D813D
	s_and_b32 s60, 0xfffeffff, s60                             // 00000000850C: 863C3CFF FFFEFFFF
	s_and_b32 s61, 0xfffeffff, s61                             // 000000008514: 863D3DFF FFFEFFFF
	v_cndmask_b32_e64 v63, v63, v178, s[60:61]                 // 00000000851C: D100003F 00F3653F
	s_branch label_11E1                                        // 000000008524: BF820005

0000000000008528 <label_11DC>:
	v_mov_b32_e32 v60, v178                                    // 000000008528: 7E7803B2
	v_mov_b32_e32 v61, v178                                    // 00000000852C: 7E7A03B2
	v_mov_b32_e32 v62, v178                                    // 000000008530: 7E7C03B2
	v_mov_b32_e32 v63, v178                                    // 000000008534: 7E7E03B2
	s_branch label_11E1                                        // 000000008538: BF820000

000000000000853c <label_11E1>:
	s_addk_i32 s74, 0x1                                        // 00000000853C: B74A0001
	s_add_u32 s62, 0, s46                                      // 000000008540: 803E2E80
	s_cmp_lt_i32 s74, s62                                      // 000000008544: BF043E4A
	s_cbranch_scc1 label_120D                                  // 000000008548: BF850028
	s_cmp_eq_i32 s74, s62                                      // 00000000854C: BF003E4A
	s_cbranch_scc1 label_11F2                                  // 000000008550: BF85000B
	s_add_u32 s62, 4, s46                                      // 000000008554: 803E2E84
	s_cmp_lt_i32 s74, s62                                      // 000000008558: BF043E4A
	s_cbranch_scc1 label_122D                                  // 00000000855C: BF850043
	s_cmp_eq_i32 s74, s62                                      // 000000008560: BF003E4A
	s_cbranch_scc1 label_1212                                  // 000000008564: BF850026
	s_add_u32 s62, 8, s46                                      // 000000008568: 803E2E88
	s_cmp_lt_i32 s74, s62                                      // 00000000856C: BF043E4A
	s_cbranch_scc1 label_124D                                  // 000000008570: BF85005E
	s_cmp_eq_i32 s74, s62                                      // 000000008574: BF003E4A
	s_cbranch_scc1 label_1232                                  // 000000008578: BF850041
	s_branch label_1252                                        // 00000000857C: BF820060

0000000000008580 <label_11F2>:
	v_cndmask_b32_e64 v64, v64, v178, s[60:61]                 // 000000008580: D1000040 00F36540
	s_lshl_b32 s60, s60, 1                                     // 000000008588: 8E3C813C
	s_lshl_b32 s61, s61, 1                                     // 00000000858C: 8E3D813D
	s_and_b32 s60, 0xfffeffff, s60                             // 000000008590: 863C3CFF FFFEFFFF
	s_and_b32 s61, 0xfffeffff, s61                             // 000000008598: 863D3DFF FFFEFFFF
	v_cndmask_b32_e64 v65, v65, v178, s[60:61]                 // 0000000085A0: D1000041 00F36541
	s_lshl_b32 s60, s60, 1                                     // 0000000085A8: 8E3C813C
	s_lshl_b32 s61, s61, 1                                     // 0000000085AC: 8E3D813D
	s_and_b32 s60, 0xfffeffff, s60                             // 0000000085B0: 863C3CFF FFFEFFFF
	s_and_b32 s61, 0xfffeffff, s61                             // 0000000085B8: 863D3DFF FFFEFFFF
	v_cndmask_b32_e64 v66, v66, v178, s[60:61]                 // 0000000085C0: D1000042 00F36542
	s_lshl_b32 s60, s60, 1                                     // 0000000085C8: 8E3C813C
	s_lshl_b32 s61, s61, 1                                     // 0000000085CC: 8E3D813D
	s_and_b32 s60, 0xfffeffff, s60                             // 0000000085D0: 863C3CFF FFFEFFFF
	s_and_b32 s61, 0xfffeffff, s61                             // 0000000085D8: 863D3DFF FFFEFFFF
	v_cndmask_b32_e64 v67, v67, v178, s[60:61]                 // 0000000085E0: D1000043 00F36543
	s_branch label_122D                                        // 0000000085E8: BF820020

00000000000085ec <label_120D>:
	v_mov_b32_e32 v64, v178                                    // 0000000085EC: 7E8003B2
	v_mov_b32_e32 v65, v178                                    // 0000000085F0: 7E8203B2
	v_mov_b32_e32 v66, v178                                    // 0000000085F4: 7E8403B2
	v_mov_b32_e32 v67, v178                                    // 0000000085F8: 7E8603B2
	s_branch label_122D                                        // 0000000085FC: BF82001B

0000000000008600 <label_1212>:
	v_cndmask_b32_e64 v68, v68, v178, s[60:61]                 // 000000008600: D1000044 00F36544
	s_lshl_b32 s60, s60, 1                                     // 000000008608: 8E3C813C
	s_lshl_b32 s61, s61, 1                                     // 00000000860C: 8E3D813D
	s_and_b32 s60, 0xfffeffff, s60                             // 000000008610: 863C3CFF FFFEFFFF
	s_and_b32 s61, 0xfffeffff, s61                             // 000000008618: 863D3DFF FFFEFFFF
	v_cndmask_b32_e64 v69, v69, v178, s[60:61]                 // 000000008620: D1000045 00F36545
	s_lshl_b32 s60, s60, 1                                     // 000000008628: 8E3C813C
	s_lshl_b32 s61, s61, 1                                     // 00000000862C: 8E3D813D
	s_and_b32 s60, 0xfffeffff, s60                             // 000000008630: 863C3CFF FFFEFFFF
	s_and_b32 s61, 0xfffeffff, s61                             // 000000008638: 863D3DFF FFFEFFFF
	v_cndmask_b32_e64 v70, v70, v178, s[60:61]                 // 000000008640: D1000046 00F36546
	s_lshl_b32 s60, s60, 1                                     // 000000008648: 8E3C813C
	s_lshl_b32 s61, s61, 1                                     // 00000000864C: 8E3D813D
	s_and_b32 s60, 0xfffeffff, s60                             // 000000008650: 863C3CFF FFFEFFFF
	s_and_b32 s61, 0xfffeffff, s61                             // 000000008658: 863D3DFF FFFEFFFF
	v_cndmask_b32_e64 v71, v71, v178, s[60:61]                 // 000000008660: D1000047 00F36547
	s_branch label_124D                                        // 000000008668: BF820020

000000000000866c <label_122D>:
	v_mov_b32_e32 v68, v178                                    // 00000000866C: 7E8803B2
	v_mov_b32_e32 v69, v178                                    // 000000008670: 7E8A03B2
	v_mov_b32_e32 v70, v178                                    // 000000008674: 7E8C03B2
	v_mov_b32_e32 v71, v178                                    // 000000008678: 7E8E03B2
	s_branch label_124D                                        // 00000000867C: BF82001B

0000000000008680 <label_1232>:
	v_cndmask_b32_e64 v72, v72, v178, s[60:61]                 // 000000008680: D1000048 00F36548
	s_lshl_b32 s60, s60, 1                                     // 000000008688: 8E3C813C
	s_lshl_b32 s61, s61, 1                                     // 00000000868C: 8E3D813D
	s_and_b32 s60, 0xfffeffff, s60                             // 000000008690: 863C3CFF FFFEFFFF
	s_and_b32 s61, 0xfffeffff, s61                             // 000000008698: 863D3DFF FFFEFFFF
	v_cndmask_b32_e64 v73, v73, v178, s[60:61]                 // 0000000086A0: D1000049 00F36549
	s_lshl_b32 s60, s60, 1                                     // 0000000086A8: 8E3C813C
	s_lshl_b32 s61, s61, 1                                     // 0000000086AC: 8E3D813D
	s_and_b32 s60, 0xfffeffff, s60                             // 0000000086B0: 863C3CFF FFFEFFFF
	s_and_b32 s61, 0xfffeffff, s61                             // 0000000086B8: 863D3DFF FFFEFFFF
	v_cndmask_b32_e64 v74, v74, v178, s[60:61]                 // 0000000086C0: D100004A 00F3654A
	s_lshl_b32 s60, s60, 1                                     // 0000000086C8: 8E3C813C
	s_lshl_b32 s61, s61, 1                                     // 0000000086CC: 8E3D813D
	s_and_b32 s60, 0xfffeffff, s60                             // 0000000086D0: 863C3CFF FFFEFFFF
	s_and_b32 s61, 0xfffeffff, s61                             // 0000000086D8: 863D3DFF FFFEFFFF
	v_cndmask_b32_e64 v75, v75, v178, s[60:61]                 // 0000000086E0: D100004B 00F3654B
	s_branch label_1252                                        // 0000000086E8: BF820005

00000000000086ec <label_124D>:
	v_mov_b32_e32 v72, v178                                    // 0000000086EC: 7E9003B2
	v_mov_b32_e32 v73, v178                                    // 0000000086F0: 7E9203B2
	v_mov_b32_e32 v74, v178                                    // 0000000086F4: 7E9403B2
	v_mov_b32_e32 v75, v178                                    // 0000000086F8: 7E9603B2
	s_branch label_1252                                        // 0000000086FC: BF820000

0000000000008700 <label_1252>:
	s_cmp_lt_i32 s84, 0xc0                                     // 000000008700: BF04FF54 000000C0
	s_cbranch_scc0 label_12CB                                  // 000000008708: BF84006D
	s_cmp_le_i32 s84, 64                                       // 00000000870C: BF05C054
	s_cbranch_scc1 label_125E                                  // 000000008710: BF850007
	s_cmp_le_i32 s84, 0x80                                     // 000000008714: BF05FF54 00000080
	s_cbranch_scc1 label_1282                                  // 00000000871C: BF85001F
	s_cmp_lt_i32 s84, 0xc0                                     // 000000008720: BF04FF54 000000C0
	s_cbranch_scc1 label_12A6                                  // 000000008728: BF850040
	s_branch label_12CB                                        // 00000000872C: BF820064

0000000000008730 <label_125E>:
	s_mov_b32 s60, 0                                           // 000000008730: BEBC0080
	v_and_b32_e32 v32, 15, v0                                  // 000000008734: 2640008F
	v_add_u32_e64 v32, v32, s60                                // 000000008738: D1340020 00007920
	v_mul_i32_i24_e64 v33, s46, 16                             // 000000008740: D1060021 0001202E
	v_add_u32_e32 v32, v32, v33                                // 000000008748: 68404320
	v_cmp_lt_u32_e64 s[60:61], v32, s84                        // 00000000874C: D0C9003C 0000A920
	s_nop 1                                                    // 000000008754: BF800001
	v_cndmask_b32_e64 v52, v178, v52, s[60:61]                 // 000000008758: D1000034 00F269B2
	v_cndmask_b32_e64 v64, v178, v64, s[60:61]                 // 000000008760: D1000040 00F281B2
	v_cndmask_b32_e64 v53, v178, v53, s[60:61]                 // 000000008768: D1000035 00F26BB2
	v_cndmask_b32_e64 v65, v178, v65, s[60:61]                 // 000000008770: D1000041 00F283B2
	v_cndmask_b32_e64 v54, v178, v54, s[60:61]                 // 000000008778: D1000036 00F26DB2
	v_cndmask_b32_e64 v66, v178, v66, s[60:61]                 // 000000008780: D1000042 00F285B2
	v_cndmask_b32_e64 v55, v178, v55, s[60:61]                 // 000000008788: D1000037 00F26FB2
	v_cndmask_b32_e64 v67, v178, v67, s[60:61]                 // 000000008790: D1000043 00F287B2
	s_branch label_129D                                        // 000000008798: BF82001B

000000000000879c <label_1282>:
	s_mov_b32 s60, 64                                          // 00000000879C: BEBC00C0
	v_and_b32_e32 v32, 15, v0                                  // 0000000087A0: 2640008F
	v_add_u32_e64 v32, v32, s60                                // 0000000087A4: D1340020 00007920
	v_mul_i32_i24_e64 v33, s46, 16                             // 0000000087AC: D1060021 0001202E
	v_add_u32_e32 v32, v32, v33                                // 0000000087B4: 68404320
	v_cmp_lt_u32_e64 s[60:61], v32, s84                        // 0000000087B8: D0C9003C 0000A920
	s_nop 1                                                    // 0000000087C0: BF800001
	v_cndmask_b32_e64 v56, v178, v56, s[60:61]                 // 0000000087C4: D1000038 00F271B2
	v_cndmask_b32_e64 v68, v178, v68, s[60:61]                 // 0000000087CC: D1000044 00F289B2
	v_cndmask_b32_e64 v57, v178, v57, s[60:61]                 // 0000000087D4: D1000039 00F273B2
	v_cndmask_b32_e64 v69, v178, v69, s[60:61]                 // 0000000087DC: D1000045 00F28BB2
	v_cndmask_b32_e64 v58, v178, v58, s[60:61]                 // 0000000087E4: D100003A 00F275B2
	v_cndmask_b32_e64 v70, v178, v70, s[60:61]                 // 0000000087EC: D1000046 00F28DB2
	v_cndmask_b32_e64 v59, v178, v59, s[60:61]                 // 0000000087F4: D100003B 00F277B2
	v_cndmask_b32_e64 v71, v178, v71, s[60:61]                 // 0000000087FC: D1000047 00F28FB2
	s_branch label_12C2                                        // 000000008804: BF820025

0000000000008808 <label_129D>:
	v_mov_b32_e32 v56, v178                                    // 000000008808: 7E7003B2
	v_mov_b32_e32 v68, v178                                    // 00000000880C: 7E8803B2
	v_mov_b32_e32 v57, v178                                    // 000000008810: 7E7203B2
	v_mov_b32_e32 v69, v178                                    // 000000008814: 7E8A03B2
	v_mov_b32_e32 v58, v178                                    // 000000008818: 7E7403B2
	v_mov_b32_e32 v70, v178                                    // 00000000881C: 7E8C03B2
	v_mov_b32_e32 v59, v178                                    // 000000008820: 7E7603B2
	v_mov_b32_e32 v71, v178                                    // 000000008824: 7E8E03B2
	s_branch label_12C2                                        // 000000008828: BF82001C

000000000000882c <label_12A6>:
	s_mov_b32 s60, 0x80                                        // 00000000882C: BEBC00FF 00000080
	v_and_b32_e32 v32, 15, v0                                  // 000000008834: 2640008F
	v_add_u32_e64 v32, v32, s60                                // 000000008838: D1340020 00007920
	v_mul_i32_i24_e64 v33, s46, 16                             // 000000008840: D1060021 0001202E
	v_add_u32_e32 v32, v32, v33                                // 000000008848: 68404320
	v_cmp_lt_u32_e64 s[60:61], v32, s84                        // 00000000884C: D0C9003C 0000A920
	s_nop 1                                                    // 000000008854: BF800001
	v_cndmask_b32_e64 v60, v178, v60, s[60:61]                 // 000000008858: D100003C 00F279B2
	v_cndmask_b32_e64 v72, v178, v72, s[60:61]                 // 000000008860: D1000048 00F291B2
	v_cndmask_b32_e64 v61, v178, v61, s[60:61]                 // 000000008868: D100003D 00F27BB2
	v_cndmask_b32_e64 v73, v178, v73, s[60:61]                 // 000000008870: D1000049 00F293B2
	v_cndmask_b32_e64 v62, v178, v62, s[60:61]                 // 000000008878: D100003E 00F27DB2
	v_cndmask_b32_e64 v74, v178, v74, s[60:61]                 // 000000008880: D100004A 00F295B2
	v_cndmask_b32_e64 v63, v178, v63, s[60:61]                 // 000000008888: D100003F 00F27FB2
	v_cndmask_b32_e64 v75, v178, v75, s[60:61]                 // 000000008890: D100004B 00F297B2
	s_branch label_12CB                                        // 000000008898: BF820009

000000000000889c <label_12C2>:
	v_mov_b32_e32 v60, v178                                    // 00000000889C: 7E7803B2
	v_mov_b32_e32 v72, v178                                    // 0000000088A0: 7E9003B2
	v_mov_b32_e32 v61, v178                                    // 0000000088A4: 7E7A03B2
	v_mov_b32_e32 v73, v178                                    // 0000000088A8: 7E9203B2
	v_mov_b32_e32 v62, v178                                    // 0000000088AC: 7E7C03B2
	v_mov_b32_e32 v74, v178                                    // 0000000088B0: 7E9403B2
	v_mov_b32_e32 v63, v178                                    // 0000000088B4: 7E7E03B2
	v_mov_b32_e32 v75, v178                                    // 0000000088B8: 7E9603B2
	s_branch label_12CB                                        // 0000000088BC: BF820000

00000000000088c0 <label_12CB>:
	s_addk_i32 s74, 0x1                                        // 0000000088C0: B74A0001
	s_waitcnt lgkmcnt(8)                                       // 0000000088C4: BF8CC87F
	s_barrier                                                  // 0000000088C8: BF8A0000
	v_mfma_f32_16x16x16_bf16 v[76:79], v[108:109], a[72:73], 0 // 0000000088CC: D3E1004C 1202916C
	v_fma_f32 v52, v52, s57, -v140                             // 0000000088D4: D1CB0034 86307334
	v_fma_f32 v53, v53, s57, -v141                             // 0000000088DC: D1CB0035 86347335
	v_fma_f32 v54, v54, s57, -v142                             // 0000000088E4: D1CB0036 86387336
	v_fma_f32 v55, v55, s57, -v143                             // 0000000088EC: D1CB0037 863C7337
	v_fma_f32 v56, v56, s57, -v140                             // 0000000088F4: D1CB0038 86307338
	v_fma_f32 v57, v57, s57, -v141                             // 0000000088FC: D1CB0039 86347339
	v_mfma_f32_16x16x16_bf16 v[76:79], v[110:111], a[74:75], v[76:79]// 000000008904: D3E1004C 1532956E
	ds_read_b128 a[96:99], v14 offset:4352                     // 00000000890C: DBFE1100 6000000E
	ds_read_b128 a[100:103], v14 offset:4864                   // 000000008914: DBFE1300 6400000E
	v_mfma_f32_16x16x16_bf16 v[76:79], v[112:113], a[76:77], v[76:79]// 00000000891C: D3E1004C 15329970
	v_fma_f32 v58, v58, s57, -v142                             // 000000008924: D1CB003A 8638733A
	v_fma_f32 v59, v59, s57, -v143                             // 00000000892C: D1CB003B 863C733B
	v_fma_f32 v60, v60, s57, -v140                             // 000000008934: D1CB003C 8630733C
	v_fma_f32 v61, v61, s57, -v141                             // 00000000893C: D1CB003D 8634733D
	v_fma_f32 v62, v62, s57, -v142                             // 000000008944: D1CB003E 8638733E
	v_fma_f32 v63, v63, s57, -v143                             // 00000000894C: D1CB003F 863C733F
	v_mfma_f32_16x16x16_bf16 v[76:79], v[114:115], a[78:79], v[76:79]// 000000008954: D3E1004C 15329D72
	v_fma_f32 v64, v64, s57, -v144                             // 00000000895C: D1CB0040 86407340
	v_fma_f32 v65, v65, s57, -v145                             // 000000008964: D1CB0041 86447341
	v_fma_f32 v66, v66, s57, -v146                             // 00000000896C: D1CB0042 86487342
	v_fma_f32 v67, v67, s57, -v147                             // 000000008974: D1CB0043 864C7343
	v_fma_f32 v68, v68, s57, -v144                             // 00000000897C: D1CB0044 86407344
	v_fma_f32 v69, v69, s57, -v145                             // 000000008984: D1CB0045 86447345
	v_mfma_f32_16x16x16_bf16 v[80:83], v[108:109], a[80:81], 0 // 00000000898C: D3E10050 1202A16C
	v_fma_f32 v70, v70, s57, -v146                             // 000000008994: D1CB0046 86487346
	v_fma_f32 v71, v71, s57, -v147                             // 00000000899C: D1CB0047 864C7347
	v_fma_f32 v72, v72, s57, -v144                             // 0000000089A4: D1CB0048 86407348
	v_fma_f32 v73, v73, s57, -v145                             // 0000000089AC: D1CB0049 86447349
	v_fma_f32 v74, v74, s57, -v146                             // 0000000089B4: D1CB004A 8648734A
	v_fma_f32 v75, v75, s57, -v147                             // 0000000089BC: D1CB004B 864C734B
	v_mfma_f32_16x16x16_bf16 v[80:83], v[110:111], a[82:83], v[80:83]// 0000000089C4: D3E10050 1542A56E
	ds_read_b128 a[104:107], v14 offset:6528                   // 0000000089CC: DBFE1980 6800000E
	ds_read_b128 a[108:111], v14 offset:7040                   // 0000000089D4: DBFE1B80 6C00000E
	v_mfma_f32_16x16x16_bf16 v[80:83], v[112:113], a[84:85], v[80:83]// 0000000089DC: D3E10050 1542A970
	v_exp_f32_e32 v52, v52                                     // 0000000089E4: 7E684134
	v_exp_f32_e32 v53, v53                                     // 0000000089E8: 7E6A4135
	v_mfma_f32_16x16x16_bf16 v[80:83], v[114:115], a[86:87], v[80:83]// 0000000089EC: D3E10050 1542AD72
	v_exp_f32_e32 v54, v54                                     // 0000000089F4: 7E6C4136
	v_exp_f32_e32 v55, v55                                     // 0000000089F8: 7E6E4137
	v_mfma_f32_16x16x16_bf16 v[84:87], v[108:109], a[88:89], 0 // 0000000089FC: D3E10054 1202B16C
	v_exp_f32_e32 v56, v56                                     // 000000008A04: 7E704138
	v_exp_f32_e32 v57, v57                                     // 000000008A08: 7E724139
	v_mfma_f32_16x16x16_bf16 v[84:87], v[110:111], a[90:91], v[84:87]// 000000008A0C: D3E10054 1552B56E
	ds_read_b64 v[156:157], v21 offset:31232                   // 000000008A14: D8EC7A00 9C000015
	ds_read_b64 v[158:159], v21 offset:33280                   // 000000008A1C: D8EC8200 9E000015
	v_mfma_f32_16x16x16_bf16 v[84:87], v[112:113], a[92:93], v[84:87]// 000000008A24: D3E10054 1552B970
	v_exp_f32_e32 v58, v58                                     // 000000008A2C: 7E74413A
	v_exp_f32_e32 v59, v59                                     // 000000008A30: 7E76413B
	v_mfma_f32_16x16x16_bf16 v[84:87], v[114:115], a[94:95], v[84:87]// 000000008A34: D3E10054 1552BD72
	ds_read_b64 v[160:161], v21 offset:35328                   // 000000008A3C: D8EC8A00 A0000015
	ds_read_b64 v[162:163], v21 offset:37376                   // 000000008A44: D8EC9200 A2000015
	v_mfma_f32_16x16x16_bf16 v[88:91], v[116:117], a[72:73], 0 // 000000008A4C: D3E10058 12029174
	v_exp_f32_e32 v60, v60                                     // 000000008A54: 7E78413C
	v_exp_f32_e32 v61, v61                                     // 000000008A58: 7E7A413D
	v_mfma_f32_16x16x16_bf16 v[88:91], v[118:119], a[74:75], v[88:91]// 000000008A5C: D3E10058 15629576
	v_exp_f32_e32 v62, v62                                     // 000000008A64: 7E7C413E
	v_exp_f32_e32 v63, v63                                     // 000000008A68: 7E7E413F
	v_mfma_f32_16x16x16_bf16 v[88:91], v[120:121], a[76:77], v[88:91]// 000000008A6C: D3E10058 15629978
	v_exp_f32_e32 v64, v64                                     // 000000008A74: 7E804140
	v_exp_f32_e32 v65, v65                                     // 000000008A78: 7E824141
	v_mfma_f32_16x16x16_bf16 v[88:91], v[122:123], a[78:79], v[88:91]// 000000008A7C: D3E10058 15629D7A
	v_exp_f32_e32 v66, v66                                     // 000000008A84: 7E844142
	v_exp_f32_e32 v67, v67                                     // 000000008A88: 7E864143
	v_mfma_f32_16x16x16_bf16 v[92:95], v[116:117], a[80:81], 0 // 000000008A8C: D3E1005C 1202A174
	v_exp_f32_e32 v68, v68                                     // 000000008A94: 7E884144
	v_exp_f32_e32 v69, v69                                     // 000000008A98: 7E8A4145
	v_mfma_f32_16x16x16_bf16 v[92:95], v[118:119], a[82:83], v[92:95]// 000000008A9C: D3E1005C 1572A576
	v_exp_f32_e32 v70, v70                                     // 000000008AA4: 7E8C4146
	v_exp_f32_e32 v71, v71                                     // 000000008AA8: 7E8E4147
	v_mfma_f32_16x16x16_bf16 v[92:95], v[120:121], a[84:85], v[92:95]// 000000008AAC: D3E1005C 1572A978
	v_exp_f32_e32 v72, v72                                     // 000000008AB4: 7E904148
	v_exp_f32_e32 v73, v73                                     // 000000008AB8: 7E924149
	v_mfma_f32_16x16x16_bf16 v[92:95], v[122:123], a[86:87], v[92:95]// 000000008ABC: D3E1005C 1572AD7A
	v_exp_f32_e32 v74, v74                                     // 000000008AC4: 7E94414A
	v_exp_f32_e32 v75, v75                                     // 000000008AC8: 7E96414B
	v_mfma_f32_16x16x16_bf16 v[96:99], v[116:117], a[88:89], 0 // 000000008ACC: D3E10060 1202B174
	v_cmp_u_f32_e64 s[78:79], v52, v52                         // 000000008AD4: D048004E 00026934
	v_add3_u32 v228, v52, v231, 1                              // 000000008ADC: D1FF00E4 0207CF34
	v_cndmask_b32_e64 v32, v228, v230, s[78:79]                // 000000008AE4: D1000020 013BCDE4
	v_cmp_u_f32_e64 s[78:79], v53, v53                         // 000000008AEC: D048004E 00026B35
	v_add3_u32 v228, v53, v231, 1                              // 000000008AF4: D1FF00E4 0207CF35
	v_cndmask_b32_e64 v33, v228, v230, s[78:79]                // 000000008AFC: D1000021 013BCDE4
	v_perm_b32 v164, v33, v32, s64                             // 000000008B04: D1ED00A4 01024121
	v_cmp_u_f32_e64 s[78:79], v54, v54                         // 000000008B0C: D048004E 00026D36
	v_add3_u32 v228, v54, v231, 1                              // 000000008B14: D1FF00E4 0207CF36
	v_cndmask_b32_e64 v32, v228, v230, s[78:79]                // 000000008B1C: D1000020 013BCDE4
	v_cmp_u_f32_e64 s[78:79], v55, v55                         // 000000008B24: D048004E 00026F37
	v_add3_u32 v228, v55, v231, 1                              // 000000008B2C: D1FF00E4 0207CF37
	v_cndmask_b32_e64 v33, v228, v230, s[78:79]                // 000000008B34: D1000021 013BCDE4
	v_perm_b32 v165, v33, v32, s64                             // 000000008B3C: D1ED00A5 01024121
	v_cmp_u_f32_e64 s[78:79], v56, v56                         // 000000008B44: D048004E 00027138
	v_add3_u32 v228, v56, v231, 1                              // 000000008B4C: D1FF00E4 0207CF38
	v_cndmask_b32_e64 v32, v228, v230, s[78:79]                // 000000008B54: D1000020 013BCDE4
	v_cmp_u_f32_e64 s[78:79], v57, v57                         // 000000008B5C: D048004E 00027339
	v_add3_u32 v228, v57, v231, 1                              // 000000008B64: D1FF00E4 0207CF39
	v_cndmask_b32_e64 v33, v228, v230, s[78:79]                // 000000008B6C: D1000021 013BCDE4
	v_perm_b32 v166, v33, v32, s64                             // 000000008B74: D1ED00A6 01024121
	v_cmp_u_f32_e64 s[78:79], v58, v58                         // 000000008B7C: D048004E 0002753A
	v_add3_u32 v228, v58, v231, 1                              // 000000008B84: D1FF00E4 0207CF3A
	v_cndmask_b32_e64 v32, v228, v230, s[78:79]                // 000000008B8C: D1000020 013BCDE4
	v_cmp_u_f32_e64 s[78:79], v59, v59                         // 000000008B94: D048004E 0002773B
	v_add3_u32 v228, v59, v231, 1                              // 000000008B9C: D1FF00E4 0207CF3B
	v_cndmask_b32_e64 v33, v228, v230, s[78:79]                // 000000008BA4: D1000021 013BCDE4
	v_perm_b32 v167, v33, v32, s64                             // 000000008BAC: D1ED00A7 01024121
	v_cmp_u_f32_e64 s[78:79], v60, v60                         // 000000008BB4: D048004E 0002793C
	v_add3_u32 v228, v60, v231, 1                              // 000000008BBC: D1FF00E4 0207CF3C
	v_cndmask_b32_e64 v32, v228, v230, s[78:79]                // 000000008BC4: D1000020 013BCDE4
	v_cmp_u_f32_e64 s[78:79], v61, v61                         // 000000008BCC: D048004E 00027B3D
	v_add3_u32 v228, v61, v231, 1                              // 000000008BD4: D1FF00E4 0207CF3D
	v_cndmask_b32_e64 v33, v228, v230, s[78:79]                // 000000008BDC: D1000021 013BCDE4
	v_perm_b32 v168, v33, v32, s64                             // 000000008BE4: D1ED00A8 01024121
	v_cmp_u_f32_e64 s[78:79], v62, v62                         // 000000008BEC: D048004E 00027D3E
	v_add3_u32 v228, v62, v231, 1                              // 000000008BF4: D1FF00E4 0207CF3E
	v_cndmask_b32_e64 v32, v228, v230, s[78:79]                // 000000008BFC: D1000020 013BCDE4
	v_cmp_u_f32_e64 s[78:79], v63, v63                         // 000000008C04: D048004E 00027F3F
	v_add3_u32 v228, v63, v231, 1                              // 000000008C0C: D1FF00E4 0207CF3F
	v_cndmask_b32_e64 v33, v228, v230, s[78:79]                // 000000008C14: D1000021 013BCDE4
	v_perm_b32 v169, v33, v32, s64                             // 000000008C1C: D1ED00A9 01024121
	v_mfma_f32_16x16x16_bf16 v[96:99], v[118:119], a[90:91], v[96:99]// 000000008C24: D3E10060 1582B576
	v_cmp_u_f32_e64 s[78:79], v64, v64                         // 000000008C2C: D048004E 00028140
	v_add3_u32 v228, v64, v231, 1                              // 000000008C34: D1FF00E4 0207CF40
	v_cndmask_b32_e64 v32, v228, v230, s[78:79]                // 000000008C3C: D1000020 013BCDE4
	v_cmp_u_f32_e64 s[78:79], v65, v65                         // 000000008C44: D048004E 00028341
	v_add3_u32 v228, v65, v231, 1                              // 000000008C4C: D1FF00E4 0207CF41
	v_cndmask_b32_e64 v33, v228, v230, s[78:79]                // 000000008C54: D1000021 013BCDE4
	v_perm_b32 v170, v33, v32, s64                             // 000000008C5C: D1ED00AA 01024121
	v_cmp_u_f32_e64 s[78:79], v66, v66                         // 000000008C64: D048004E 00028542
	v_add3_u32 v228, v66, v231, 1                              // 000000008C6C: D1FF00E4 0207CF42
	v_cndmask_b32_e64 v32, v228, v230, s[78:79]                // 000000008C74: D1000020 013BCDE4
	v_cmp_u_f32_e64 s[78:79], v67, v67                         // 000000008C7C: D048004E 00028743
	v_add3_u32 v228, v67, v231, 1                              // 000000008C84: D1FF00E4 0207CF43
	v_cndmask_b32_e64 v33, v228, v230, s[78:79]                // 000000008C8C: D1000021 013BCDE4
	v_perm_b32 v171, v33, v32, s64                             // 000000008C94: D1ED00AB 01024121
	v_cmp_u_f32_e64 s[78:79], v68, v68                         // 000000008C9C: D048004E 00028944
	v_add3_u32 v228, v68, v231, 1                              // 000000008CA4: D1FF00E4 0207CF44
	v_cndmask_b32_e64 v32, v228, v230, s[78:79]                // 000000008CAC: D1000020 013BCDE4
	v_cmp_u_f32_e64 s[78:79], v69, v69                         // 000000008CB4: D048004E 00028B45
	v_add3_u32 v228, v69, v231, 1                              // 000000008CBC: D1FF00E4 0207CF45
	v_cndmask_b32_e64 v33, v228, v230, s[78:79]                // 000000008CC4: D1000021 013BCDE4
	v_perm_b32 v172, v33, v32, s64                             // 000000008CCC: D1ED00AC 01024121
	v_cmp_u_f32_e64 s[78:79], v70, v70                         // 000000008CD4: D048004E 00028D46
	v_add3_u32 v228, v70, v231, 1                              // 000000008CDC: D1FF00E4 0207CF46
	v_cndmask_b32_e64 v32, v228, v230, s[78:79]                // 000000008CE4: D1000020 013BCDE4
	v_cmp_u_f32_e64 s[78:79], v71, v71                         // 000000008CEC: D048004E 00028F47
	v_add3_u32 v228, v71, v231, 1                              // 000000008CF4: D1FF00E4 0207CF47
	v_cndmask_b32_e64 v33, v228, v230, s[78:79]                // 000000008CFC: D1000021 013BCDE4
	v_perm_b32 v173, v33, v32, s64                             // 000000008D04: D1ED00AD 01024121
	v_cmp_u_f32_e64 s[78:79], v72, v72                         // 000000008D0C: D048004E 00029148
	v_add3_u32 v228, v72, v231, 1                              // 000000008D14: D1FF00E4 0207CF48
	v_cndmask_b32_e64 v32, v228, v230, s[78:79]                // 000000008D1C: D1000020 013BCDE4
	v_cmp_u_f32_e64 s[78:79], v73, v73                         // 000000008D24: D048004E 00029349
	v_add3_u32 v228, v73, v231, 1                              // 000000008D2C: D1FF00E4 0207CF49
	v_cndmask_b32_e64 v33, v228, v230, s[78:79]                // 000000008D34: D1000021 013BCDE4
	v_perm_b32 v174, v33, v32, s64                             // 000000008D3C: D1ED00AE 01024121
	v_cmp_u_f32_e64 s[78:79], v74, v74                         // 000000008D44: D048004E 0002954A
	v_add3_u32 v228, v74, v231, 1                              // 000000008D4C: D1FF00E4 0207CF4A
	v_cndmask_b32_e64 v32, v228, v230, s[78:79]                // 000000008D54: D1000020 013BCDE4
	v_cmp_u_f32_e64 s[78:79], v75, v75                         // 000000008D5C: D048004E 0002974B
	v_add3_u32 v228, v75, v231, 1                              // 000000008D64: D1FF00E4 0207CF4B
	v_cndmask_b32_e64 v33, v228, v230, s[78:79]                // 000000008D6C: D1000021 013BCDE4
	v_perm_b32 v175, v33, v32, s64                             // 000000008D74: D1ED00AF 01024121
	v_mfma_f32_16x16x16_bf16 v[96:99], v[120:121], a[92:93], v[96:99]// 000000008D7C: D3E10060 1582B978
	v_add_u32_e32 v6, s66, v6                                  // 000000008D84: 680C0C42
	v_add_u32_e32 v7, s66, v7                                  // 000000008D88: 680E0E42
	v_add_u32_e32 v8, s66, v8                                  // 000000008D8C: 68101042
	v_add_u32_e32 v9, s66, v9                                  // 000000008D90: 68121242
	v_mfma_f32_16x16x16_bf16 v[96:99], v[122:123], a[94:95], v[96:99]// 000000008D94: D3E10060 1582BD7A
	s_waitcnt lgkmcnt(0)                                       // 000000008D9C: BF8CC07F
	s_barrier                                                  // 000000008DA0: BF8A0000
	v_mfma_f32_16x16x16_bf16 v[180:183], v[124:125], v[164:165], v[180:183]// 000000008DA4: D3E100B4 06D3497C
	v_subrev_f32_dpp v76, v176, v76 quad_perm:[0,0,0,0] row_mask:0xf bank_mask:0xf// 000000008DAC: 069898FA FF0000B0
	v_subrev_f32_dpp v77, v176, v77 quad_perm:[1,1,1,1] row_mask:0xf bank_mask:0xf// 000000008DB4: 069A9AFA FF0055B0
	v_subrev_f32_dpp v78, v176, v78 quad_perm:[2,2,2,2] row_mask:0xf bank_mask:0xf// 000000008DBC: 069C9CFA FF00AAB0
	v_subrev_f32_dpp v79, v176, v79 quad_perm:[3,3,3,3] row_mask:0xf bank_mask:0xf// 000000008DC4: 069E9EFA FF00FFB0
	v_subrev_f32_dpp v80, v176, v80 quad_perm:[0,0,0,0] row_mask:0xf bank_mask:0xf// 000000008DCC: 06A0A0FA FF0000B0
	v_subrev_f32_dpp v81, v176, v81 quad_perm:[1,1,1,1] row_mask:0xf bank_mask:0xf// 000000008DD4: 06A2A2FA FF0055B0
	v_mfma_f32_16x16x16_bf16 v[184:187], v[126:127], v[164:165], v[184:187]// 000000008DDC: D3E100B8 06E3497E
	v_subrev_f32_dpp v82, v176, v82 quad_perm:[2,2,2,2] row_mask:0xf bank_mask:0xf// 000000008DE4: 06A4A4FA FF00AAB0
	v_subrev_f32_dpp v83, v176, v83 quad_perm:[3,3,3,3] row_mask:0xf bank_mask:0xf// 000000008DEC: 06A6A6FA FF00FFB0
	v_subrev_f32_dpp v84, v176, v84 quad_perm:[0,0,0,0] row_mask:0xf bank_mask:0xf// 000000008DF4: 06A8A8FA FF0000B0
	v_subrev_f32_dpp v85, v176, v85 quad_perm:[1,1,1,1] row_mask:0xf bank_mask:0xf// 000000008DFC: 06AAAAFA FF0055B0
	v_subrev_f32_dpp v86, v176, v86 quad_perm:[2,2,2,2] row_mask:0xf bank_mask:0xf// 000000008E04: 06ACACFA FF00AAB0
	v_subrev_f32_dpp v87, v176, v87 quad_perm:[3,3,3,3] row_mask:0xf bank_mask:0xf// 000000008E0C: 06AEAEFA FF00FFB0
	v_mfma_f32_16x16x16_bf16 v[188:191], v[128:129], v[164:165], v[188:191]// 000000008E14: D3E100BC 06F34980
	v_mul_f32_e32 v76, v52, v76                                // 000000008E1C: 0A989934
	v_mul_f32_e32 v77, v53, v77                                // 000000008E20: 0A9A9B35
	v_mul_f32_e32 v78, v54, v78                                // 000000008E24: 0A9C9D36
	v_mul_f32_e32 v79, v55, v79                                // 000000008E28: 0A9E9F37
	v_mul_f32_e32 v80, v56, v80                                // 000000008E2C: 0AA0A138
	v_mul_f32_e32 v81, v57, v81                                // 000000008E30: 0AA2A339
	v_mfma_f32_16x16x16_bf16 v[192:195], v[130:131], v[164:165], v[192:195]// 000000008E34: D3E100C0 07034982
	v_mul_f32_e32 v82, v58, v82                                // 000000008E3C: 0AA4A53A
	v_mul_f32_e32 v83, v59, v83                                // 000000008E40: 0AA6A73B
	v_mul_f32_e32 v84, v60, v84                                // 000000008E44: 0AA8A93C
	v_mul_f32_e32 v85, v61, v85                                // 000000008E48: 0AAAAB3D
	v_mul_f32_e32 v86, v62, v86                                // 000000008E4C: 0AACAD3E
	v_mul_f32_e32 v87, v63, v87                                // 000000008E50: 0AAEAF3F
	v_mfma_f32_16x16x16_bf16 v[196:199], v[124:125], v[166:167], v[196:199]// 000000008E54: D3E100C4 07134D7C
	v_cmp_u_f32_e64 s[78:79], v76, v76                         // 000000008E5C: D048004E 0002994C
	v_add3_u32 v228, v76, v231, 1                              // 000000008E64: D1FF00E4 0207CF4C
	v_cndmask_b32_e64 v32, v228, v230, s[78:79]                // 000000008E6C: D1000020 013BCDE4
	v_cmp_u_f32_e64 s[78:79], v77, v77                         // 000000008E74: D048004E 00029B4D
	v_add3_u32 v228, v77, v231, 1                              // 000000008E7C: D1FF00E4 0207CF4D
	v_cndmask_b32_e64 v33, v228, v230, s[78:79]                // 000000008E84: D1000021 013BCDE4
	v_perm_b32 v76, v33, v32, s64                              // 000000008E8C: D1ED004C 01024121
	v_cmp_u_f32_e64 s[78:79], v78, v78                         // 000000008E94: D048004E 00029D4E
	v_add3_u32 v228, v78, v231, 1                              // 000000008E9C: D1FF00E4 0207CF4E
	v_cndmask_b32_e64 v32, v228, v230, s[78:79]                // 000000008EA4: D1000020 013BCDE4
	v_cmp_u_f32_e64 s[78:79], v79, v79                         // 000000008EAC: D048004E 00029F4F
	v_add3_u32 v228, v79, v231, 1                              // 000000008EB4: D1FF00E4 0207CF4F
	v_cndmask_b32_e64 v33, v228, v230, s[78:79]                // 000000008EBC: D1000021 013BCDE4
	v_perm_b32 v77, v33, v32, s64                              // 000000008EC4: D1ED004D 01024121
	v_cmp_u_f32_e64 s[78:79], v80, v80                         // 000000008ECC: D048004E 0002A150
	v_add3_u32 v228, v80, v231, 1                              // 000000008ED4: D1FF00E4 0207CF50
	v_cndmask_b32_e64 v32, v228, v230, s[78:79]                // 000000008EDC: D1000020 013BCDE4
	v_cmp_u_f32_e64 s[78:79], v81, v81                         // 000000008EE4: D048004E 0002A351
	v_add3_u32 v228, v81, v231, 1                              // 000000008EEC: D1FF00E4 0207CF51
	v_cndmask_b32_e64 v33, v228, v230, s[78:79]                // 000000008EF4: D1000021 013BCDE4
	v_perm_b32 v78, v33, v32, s64                              // 000000008EFC: D1ED004E 01024121
	v_cmp_u_f32_e64 s[78:79], v82, v82                         // 000000008F04: D048004E 0002A552
	v_add3_u32 v228, v82, v231, 1                              // 000000008F0C: D1FF00E4 0207CF52
	v_cndmask_b32_e64 v32, v228, v230, s[78:79]                // 000000008F14: D1000020 013BCDE4
	v_cmp_u_f32_e64 s[78:79], v83, v83                         // 000000008F1C: D048004E 0002A753
	v_add3_u32 v228, v83, v231, 1                              // 000000008F24: D1FF00E4 0207CF53
	v_cndmask_b32_e64 v33, v228, v230, s[78:79]                // 000000008F2C: D1000021 013BCDE4
	v_perm_b32 v79, v33, v32, s64                              // 000000008F34: D1ED004F 01024121
	v_cmp_u_f32_e64 s[78:79], v84, v84                         // 000000008F3C: D048004E 0002A954
	v_add3_u32 v228, v84, v231, 1                              // 000000008F44: D1FF00E4 0207CF54
	v_cndmask_b32_e64 v32, v228, v230, s[78:79]                // 000000008F4C: D1000020 013BCDE4
	v_cmp_u_f32_e64 s[78:79], v85, v85                         // 000000008F54: D048004E 0002AB55
	v_add3_u32 v228, v85, v231, 1                              // 000000008F5C: D1FF00E4 0207CF55
	v_cndmask_b32_e64 v33, v228, v230, s[78:79]                // 000000008F64: D1000021 013BCDE4
	v_perm_b32 v80, v33, v32, s64                              // 000000008F6C: D1ED0050 01024121
	v_cmp_u_f32_e64 s[78:79], v86, v86                         // 000000008F74: D048004E 0002AD56
	v_add3_u32 v228, v86, v231, 1                              // 000000008F7C: D1FF00E4 0207CF56
	v_cndmask_b32_e64 v32, v228, v230, s[78:79]                // 000000008F84: D1000020 013BCDE4
	v_cmp_u_f32_e64 s[78:79], v87, v87                         // 000000008F8C: D048004E 0002AF57
	v_add3_u32 v228, v87, v231, 1                              // 000000008F94: D1FF00E4 0207CF57
	v_cndmask_b32_e64 v33, v228, v230, s[78:79]                // 000000008F9C: D1000021 013BCDE4
	v_perm_b32 v81, v33, v32, s64                              // 000000008FA4: D1ED0051 01024121
	v_mfma_f32_16x16x16_bf16 v[200:203], v[126:127], v[166:167], v[200:203]// 000000008FAC: D3E100C8 07234D7E
	v_mov_b32_dpp v18, v76 quad_perm:[1,0,3,2] row_mask:0xf bank_mask:0xf// 000000008FB4: 7E2402FA FF00B14C
	v_perm_b32 v52, v18, v76, v17                              // 000000008FBC: D1ED0034 04469912
	v_mov_b32_dpp v18, v77 quad_perm:[1,0,3,2] row_mask:0xf bank_mask:0xf// 000000008FC4: 7E2402FA FF00B14D
	v_perm_b32 v53, v18, v77, v17                              // 000000008FCC: D1ED0035 04469B12
	v_mov_b32_dpp v18, v78 quad_perm:[1,0,3,2] row_mask:0xf bank_mask:0xf// 000000008FD4: 7E2402FA FF00B14E
	v_perm_b32 v54, v18, v78, v17                              // 000000008FDC: D1ED0036 04469D12
	v_mfma_f32_16x16x16_bf16 v[204:207], v[128:129], v[166:167], v[204:207]// 000000008FE4: D3E100CC 07334D80
	ds_write_b32 v20, v52 offset:17408                         // 000000008FEC: D81A4400 00003414
	ds_write_b32 v20, v53 offset:17952                         // 000000008FF4: D81A4620 00003514
	v_mfma_f32_16x16x16_bf16 v[208:211], v[130:131], v[166:167], v[208:211]// 000000008FFC: D3E100D0 07434D82
	v_mov_b32_dpp v18, v79 quad_perm:[1,0,3,2] row_mask:0xf bank_mask:0xf// 000000009004: 7E2402FA FF00B14F
	v_perm_b32 v55, v18, v79, v17                              // 00000000900C: D1ED0037 04469F12
	v_mov_b32_dpp v18, v80 quad_perm:[1,0,3,2] row_mask:0xf bank_mask:0xf// 000000009014: 7E2402FA FF00B150
	v_perm_b32 v56, v18, v80, v17                              // 00000000901C: D1ED0038 0446A112
	v_mov_b32_dpp v18, v81 quad_perm:[1,0,3,2] row_mask:0xf bank_mask:0xf// 000000009024: 7E2402FA FF00B151
	v_perm_b32 v57, v18, v81, v17                              // 00000000902C: D1ED0039 0446A312
	v_mfma_f32_16x16x16_bf16 v[212:215], v[124:125], v[168:169], v[212:215]// 000000009034: D3E100D4 0753517C
	ds_write_b32 v20, v54 offset:19712                         // 00000000903C: D81A4D00 00003614
	ds_write_b32 v20, v55 offset:20256                         // 000000009044: D81A4F20 00003714
	v_mfma_f32_16x16x16_bf16 v[216:219], v[126:127], v[168:169], v[216:219]// 00000000904C: D3E100D8 0763517E
	v_subrev_f32_dpp v88, v177, v88 quad_perm:[0,0,0,0] row_mask:0xf bank_mask:0xf// 000000009054: 06B0B0FA FF0000B1
	v_subrev_f32_dpp v89, v177, v89 quad_perm:[1,1,1,1] row_mask:0xf bank_mask:0xf// 00000000905C: 06B2B2FA FF0055B1
	v_subrev_f32_dpp v90, v177, v90 quad_perm:[2,2,2,2] row_mask:0xf bank_mask:0xf// 000000009064: 06B4B4FA FF00AAB1
	v_subrev_f32_dpp v91, v177, v91 quad_perm:[3,3,3,3] row_mask:0xf bank_mask:0xf// 00000000906C: 06B6B6FA FF00FFB1
	v_subrev_f32_dpp v92, v177, v92 quad_perm:[0,0,0,0] row_mask:0xf bank_mask:0xf// 000000009074: 06B8B8FA FF0000B1
	v_subrev_f32_dpp v93, v177, v93 quad_perm:[1,1,1,1] row_mask:0xf bank_mask:0xf// 00000000907C: 06BABAFA FF0055B1
	v_mfma_f32_16x16x16_bf16 v[220:223], v[128:129], v[168:169], v[220:223]// 000000009084: D3E100DC 07735180
	ds_write_b32 v20, v56 offset:22016                         // 00000000908C: D81A5600 00003814
	ds_write_b32 v20, v57 offset:22560                         // 000000009094: D81A5820 00003914
	v_mfma_f32_16x16x16_bf16 v[224:227], v[130:131], v[168:169], v[224:227]// 00000000909C: D3E100E0 07835182
	v_subrev_f32_dpp v94, v177, v94 quad_perm:[2,2,2,2] row_mask:0xf bank_mask:0xf// 0000000090A4: 06BCBCFA FF00AAB1
	v_subrev_f32_dpp v95, v177, v95 quad_perm:[3,3,3,3] row_mask:0xf bank_mask:0xf// 0000000090AC: 06BEBEFA FF00FFB1
	v_subrev_f32_dpp v96, v177, v96 quad_perm:[0,0,0,0] row_mask:0xf bank_mask:0xf// 0000000090B4: 06C0C0FA FF0000B1
	v_subrev_f32_dpp v97, v177, v97 quad_perm:[1,1,1,1] row_mask:0xf bank_mask:0xf// 0000000090BC: 06C2C2FA FF0055B1
	v_subrev_f32_dpp v98, v177, v98 quad_perm:[2,2,2,2] row_mask:0xf bank_mask:0xf// 0000000090C4: 06C4C4FA FF00AAB1
	v_subrev_f32_dpp v99, v177, v99 quad_perm:[3,3,3,3] row_mask:0xf bank_mask:0xf// 0000000090CC: 06C6C6FA FF00FFB1
	v_mfma_f32_16x16x16_bf16 v[180:183], v[132:133], v[170:171], v[180:183]// 0000000090D4: D3E100B4 06D35584
	v_mul_f32_e32 v88, v64, v88                                // 0000000090DC: 0AB0B140
	v_mul_f32_e32 v89, v65, v89                                // 0000000090E0: 0AB2B341
	v_mul_f32_e32 v90, v66, v90                                // 0000000090E4: 0AB4B542
	v_mul_f32_e32 v91, v67, v91                                // 0000000090E8: 0AB6B743
	v_mul_f32_e32 v92, v68, v92                                // 0000000090EC: 0AB8B944
	v_mul_f32_e32 v93, v69, v93                                // 0000000090F0: 0ABABB45
	v_mfma_f32_16x16x16_bf16 v[184:187], v[134:135], v[170:171], v[184:187]// 0000000090F4: D3E100B8 06E35586
	v_mul_f32_e32 v94, v70, v94                                // 0000000090FC: 0ABCBD46
	v_mul_f32_e32 v95, v71, v95                                // 000000009100: 0ABEBF47
	v_mul_f32_e32 v96, v72, v96                                // 000000009104: 0AC0C148
	v_mul_f32_e32 v97, v73, v97                                // 000000009108: 0AC2C349
	v_mul_f32_e32 v98, v74, v98                                // 00000000910C: 0AC4C54A
	v_mul_f32_e32 v99, v75, v99                                // 000000009110: 0AC6C74B
	v_mfma_f32_16x16x16_bf16 v[188:191], v[136:137], v[170:171], v[188:191]// 000000009114: D3E100BC 06F35588
	v_cmp_u_f32_e64 s[78:79], v88, v88                         // 00000000911C: D048004E 0002B158
	v_add3_u32 v228, v88, v231, 1                              // 000000009124: D1FF00E4 0207CF58
	v_cndmask_b32_e64 v32, v228, v230, s[78:79]                // 00000000912C: D1000020 013BCDE4
	v_cmp_u_f32_e64 s[78:79], v89, v89                         // 000000009134: D048004E 0002B359
	v_add3_u32 v228, v89, v231, 1                              // 00000000913C: D1FF00E4 0207CF59
	v_cndmask_b32_e64 v33, v228, v230, s[78:79]                // 000000009144: D1000021 013BCDE4
	v_perm_b32 v82, v33, v32, s64                              // 00000000914C: D1ED0052 01024121
	v_cmp_u_f32_e64 s[78:79], v90, v90                         // 000000009154: D048004E 0002B55A
	v_add3_u32 v228, v90, v231, 1                              // 00000000915C: D1FF00E4 0207CF5A
	v_cndmask_b32_e64 v32, v228, v230, s[78:79]                // 000000009164: D1000020 013BCDE4
	v_cmp_u_f32_e64 s[78:79], v91, v91                         // 00000000916C: D048004E 0002B75B
	v_add3_u32 v228, v91, v231, 1                              // 000000009174: D1FF00E4 0207CF5B
	v_cndmask_b32_e64 v33, v228, v230, s[78:79]                // 00000000917C: D1000021 013BCDE4
	v_perm_b32 v83, v33, v32, s64                              // 000000009184: D1ED0053 01024121
	v_cmp_u_f32_e64 s[78:79], v92, v92                         // 00000000918C: D048004E 0002B95C
	v_add3_u32 v228, v92, v231, 1                              // 000000009194: D1FF00E4 0207CF5C
	v_cndmask_b32_e64 v32, v228, v230, s[78:79]                // 00000000919C: D1000020 013BCDE4
	v_cmp_u_f32_e64 s[78:79], v93, v93                         // 0000000091A4: D048004E 0002BB5D
	v_add3_u32 v228, v93, v231, 1                              // 0000000091AC: D1FF00E4 0207CF5D
	v_cndmask_b32_e64 v33, v228, v230, s[78:79]                // 0000000091B4: D1000021 013BCDE4
	v_perm_b32 v84, v33, v32, s64                              // 0000000091BC: D1ED0054 01024121
	v_cmp_u_f32_e64 s[78:79], v94, v94                         // 0000000091C4: D048004E 0002BD5E
	v_add3_u32 v228, v94, v231, 1                              // 0000000091CC: D1FF00E4 0207CF5E
	v_cndmask_b32_e64 v32, v228, v230, s[78:79]                // 0000000091D4: D1000020 013BCDE4
	v_cmp_u_f32_e64 s[78:79], v95, v95                         // 0000000091DC: D048004E 0002BF5F
	v_add3_u32 v228, v95, v231, 1                              // 0000000091E4: D1FF00E4 0207CF5F
	v_cndmask_b32_e64 v33, v228, v230, s[78:79]                // 0000000091EC: D1000021 013BCDE4
	v_perm_b32 v85, v33, v32, s64                              // 0000000091F4: D1ED0055 01024121
	v_cmp_u_f32_e64 s[78:79], v96, v96                         // 0000000091FC: D048004E 0002C160
	v_add3_u32 v228, v96, v231, 1                              // 000000009204: D1FF00E4 0207CF60
	v_cndmask_b32_e64 v32, v228, v230, s[78:79]                // 00000000920C: D1000020 013BCDE4
	v_cmp_u_f32_e64 s[78:79], v97, v97                         // 000000009214: D048004E 0002C361
	v_add3_u32 v228, v97, v231, 1                              // 00000000921C: D1FF00E4 0207CF61
	v_cndmask_b32_e64 v33, v228, v230, s[78:79]                // 000000009224: D1000021 013BCDE4
	v_perm_b32 v86, v33, v32, s64                              // 00000000922C: D1ED0056 01024121
	v_cmp_u_f32_e64 s[78:79], v98, v98                         // 000000009234: D048004E 0002C562
	v_add3_u32 v228, v98, v231, 1                              // 00000000923C: D1FF00E4 0207CF62
	v_cndmask_b32_e64 v32, v228, v230, s[78:79]                // 000000009244: D1000020 013BCDE4
	v_cmp_u_f32_e64 s[78:79], v99, v99                         // 00000000924C: D048004E 0002C763
	v_add3_u32 v228, v99, v231, 1                              // 000000009254: D1FF00E4 0207CF63
	v_cndmask_b32_e64 v33, v228, v230, s[78:79]                // 00000000925C: D1000021 013BCDE4
	v_perm_b32 v87, v33, v32, s64                              // 000000009264: D1ED0057 01024121
	v_mfma_f32_16x16x16_bf16 v[192:195], v[138:139], v[170:171], v[192:195]// 00000000926C: D3E100C0 0703558A
	v_mov_b32_dpp v18, v82 quad_perm:[1,0,3,2] row_mask:0xf bank_mask:0xf// 000000009274: 7E2402FA FF00B152
	v_perm_b32 v58, v18, v82, v17                              // 00000000927C: D1ED003A 0446A512
	v_mov_b32_dpp v18, v83 quad_perm:[1,0,3,2] row_mask:0xf bank_mask:0xf// 000000009284: 7E2402FA FF00B153
	v_perm_b32 v59, v18, v83, v17                              // 00000000928C: D1ED003B 0446A712
	v_mov_b32_dpp v18, v84 quad_perm:[1,0,3,2] row_mask:0xf bank_mask:0xf// 000000009294: 7E2402FA FF00B154
	v_perm_b32 v60, v18, v84, v17                              // 00000000929C: D1ED003C 0446A912
	v_mfma_f32_16x16x16_bf16 v[196:199], v[132:133], v[172:173], v[196:199]// 0000000092A4: D3E100C4 07135984
	ds_write_b32 v20, v58 offset:24320                         // 0000000092AC: D81A5F00 00003A14
	ds_write_b32 v20, v59 offset:24864                         // 0000000092B4: D81A6120 00003B14
	v_mfma_f32_16x16x16_bf16 v[200:203], v[134:135], v[172:173], v[200:203]// 0000000092BC: D3E100C8 07235986
	v_mov_b32_dpp v18, v85 quad_perm:[1,0,3,2] row_mask:0xf bank_mask:0xf// 0000000092C4: 7E2402FA FF00B155
	v_perm_b32 v61, v18, v85, v17                              // 0000000092CC: D1ED003D 0446AB12
	v_mov_b32_dpp v18, v86 quad_perm:[1,0,3,2] row_mask:0xf bank_mask:0xf// 0000000092D4: 7E2402FA FF00B156
	v_perm_b32 v62, v18, v86, v17                              // 0000000092DC: D1ED003E 0446AD12
	v_mov_b32_dpp v18, v87 quad_perm:[1,0,3,2] row_mask:0xf bank_mask:0xf// 0000000092E4: 7E2402FA FF00B157
	v_perm_b32 v63, v18, v87, v17                              // 0000000092EC: D1ED003F 0446AF12
	v_mfma_f32_16x16x16_bf16 v[204:207], v[136:137], v[172:173], v[204:207]// 0000000092F4: D3E100CC 07335988
	ds_write_b32 v20, v60 offset:26624                         // 0000000092FC: D81A6800 00003C14
	ds_write_b32 v20, v61 offset:27168                         // 000000009304: D81A6A20 00003D14
	ds_write_b32 v20, v62 offset:28928                         // 00000000930C: D81A7100 00003E14
	ds_write_b32 v20, v63 offset:29472                         // 000000009314: D81A7320 00003F14
	v_mfma_f32_16x16x16_bf16 v[208:211], v[138:139], v[172:173], v[208:211]// 00000000931C: D3E100D0 0743598A
	v_mfma_f32_16x16x16_bf16 v[212:215], v[132:133], v[174:175], v[212:215]// 000000009324: D3E100D4 07535D84
	ds_write_b32 v15, v100 offset:4352                         // 00000000932C: D81A1100 0000640F
	ds_write_b32 v15, v101 offset:5408                         // 000000009334: D81A1520 0000650F
	v_mfma_f32_16x16x16_bf16 v[216:219], v[134:135], v[174:175], v[216:219]// 00000000933C: D3E100D8 07635D86
	v_mfma_f32_16x16x16_bf16 v[220:223], v[136:137], v[174:175], v[220:223]// 000000009344: D3E100DC 07735D88
	ds_write_b32 v15, v102 offset:6528                         // 00000000934C: D81A1980 0000660F
	ds_write_b32 v15, v103 offset:7584                         // 000000009354: D81A1DA0 0000670F
	v_mfma_f32_16x16x16_bf16 v[224:227], v[138:139], v[174:175], v[224:227]// 00000000935C: D3E100E0 07835D8A
	s_nop 0                                                    // 000000009364: BF800000
	s_nop 0                                                    // 000000009368: BF800000
	s_nop 0                                                    // 00000000936C: BF800000
	s_barrier                                                  // 000000009370: BF8A0000
	v_mfma_f32_16x16x16_bf16 a[112:115], a[96:97], v[76:77], a[112:115]// 000000009374: D3E18070 0DC29960
	ds_read_b32 v140, v23 offset:39936                         // 00000000937C: D86C9C00 8C000017
	ds_read_b32 v144, v23 offset:40000                         // 000000009384: D86C9C40 90000017
	ds_read_b32 v176, v23 offset:40192                         // 00000000938C: D86C9D00 B0000017
	ds_read_b32 v177, v23 offset:40256                         // 000000009394: D86C9D40 B1000017
	v_mfma_f32_16x16x16_bf16 a[116:119], a[98:99], v[76:77], a[116:119]// 00000000939C: D3E18074 0DD29962
	buffer_atomic_add_f32 v156, v6, s[32:35], 0 idxen          // 0000000093A4: E1342000 80089C06
	v_mfma_f32_16x16x16_bf16 a[120:123], a[100:101], v[76:77], a[120:123]// 0000000093AC: D3E18078 0DE29964
	s_waitcnt lgkmcnt(8)                                       // 0000000093B4: BF8CC87F
	s_barrier                                                  // 0000000093B8: BF8A0000
	v_mfma_f32_16x16x16_bf16 a[124:127], a[102:103], v[76:77], a[124:127]// 0000000093BC: D3E1807C 0DF29966
	v_mfma_f32_16x16x16_bf16 a[128:131], a[96:97], v[78:79], a[128:131]// 0000000093C4: D3E18080 0E029D60
	ds_read_b128 v[52:55], v19 offset:17408                    // 0000000093CC: D9FE4400 34000013
	v_mfma_f32_16x16x16_bf16 a[132:135], a[98:99], v[78:79], a[132:135]// 0000000093D4: D3E18084 0E129D62
	v_mfma_f32_16x16x16_bf16 a[136:139], a[100:101], v[78:79], a[136:139]// 0000000093DC: D3E18088 0E229D64
	ds_read_b128 v[56:59], v19 offset:18560                    // 0000000093E4: D9FE4880 38000013
	v_mfma_f32_16x16x16_bf16 a[140:143], a[102:103], v[78:79], a[140:143]// 0000000093EC: D3E1808C 0E329D66
	buffer_atomic_add_f32 v157, v7, s[32:35], 0 idxen          // 0000000093F4: E1342000 80089D07
	v_mfma_f32_16x16x16_bf16 a[144:147], a[96:97], v[80:81], a[144:147]// 0000000093FC: D3E18090 0E42A160
	ds_read_b128 v[60:63], v19 offset:19712                    // 000000009404: D9FE4D00 3C000013
	v_mfma_f32_16x16x16_bf16 a[148:151], a[98:99], v[80:81], a[148:151]// 00000000940C: D3E18094 0E52A162
	v_mfma_f32_16x16x16_bf16 a[152:155], a[100:101], v[80:81], a[152:155]// 000000009414: D3E18098 0E62A164
	ds_read_b128 v[64:67], v19 offset:20864                    // 00000000941C: D9FE5180 40000013
	v_mfma_f32_16x16x16_bf16 a[156:159], a[102:103], v[80:81], a[156:159]// 000000009424: D3E1809C 0E72A166
	v_mfma_f32_16x16x16_bf16 a[112:115], a[104:105], v[82:83], a[112:115]// 00000000942C: D3E18070 0DC2A568
	ds_read_b128 v[68:71], v19 offset:22016                    // 000000009434: D9FE5600 44000013
	v_mfma_f32_16x16x16_bf16 a[116:119], a[106:107], v[82:83], a[116:119]// 00000000943C: D3E18074 0DD2A56A
	buffer_atomic_add_f32 v158, v6, s[32:35], 0 idxen offset:128// 000000009444: E1342080 80089E06
	v_mfma_f32_16x16x16_bf16 a[120:123], a[108:109], v[82:83], a[120:123]// 00000000944C: D3E18078 0DE2A56C
	ds_read_b128 v[72:75], v19 offset:23168                    // 000000009454: D9FE5A80 48000013
	v_mfma_f32_16x16x16_bf16 a[124:127], a[110:111], v[82:83], a[124:127]// 00000000945C: D3E1807C 0DF2A56E
	v_mfma_f32_16x16x16_bf16 a[128:131], a[104:105], v[84:85], a[128:131]// 000000009464: D3E18080 0E02A968
	ds_write_b32 v15, v104 offset:13056                        // 00000000946C: D81A3300 0000680F
	v_mfma_f32_16x16x16_bf16 a[132:135], a[106:107], v[84:85], a[132:135]// 000000009474: D3E18084 0E12A96A
	v_mfma_f32_16x16x16_bf16 a[136:139], a[108:109], v[84:85], a[136:139]// 00000000947C: D3E18088 0E22A96C
	ds_write_b32 v15, v105 offset:14112                        // 000000009484: D81A3720 0000690F
	v_mfma_f32_16x16x16_bf16 a[140:143], a[110:111], v[84:85], a[140:143]// 00000000948C: D3E1808C 0E32A96E
	buffer_atomic_add_f32 v159, v7, s[32:35], 0 idxen offset:128// 000000009494: E1342080 80089F07
	v_mfma_f32_16x16x16_bf16 a[144:147], a[104:105], v[86:87], a[144:147]// 00000000949C: D3E18090 0E42AD68
	ds_write_b32 v15, v106 offset:15232                        // 0000000094A4: D81A3B80 00006A0F
	v_mfma_f32_16x16x16_bf16 a[148:151], a[106:107], v[86:87], a[148:151]// 0000000094AC: D3E18094 0E52AD6A
	v_mfma_f32_16x16x16_bf16 a[152:155], a[108:109], v[86:87], a[152:155]// 0000000094B4: D3E18098 0E62AD6C
	ds_write_b32 v15, v107 offset:16288                        // 0000000094BC: D81A3FA0 00006B0F
	v_mfma_f32_16x16x16_bf16 a[156:159], a[110:111], v[86:87], a[156:159]// 0000000094C4: D3E1809C 0E72AD6E
	s_waitcnt vmcnt(8) lgkmcnt(4)                              // 0000000094CC: BF8C0478
	s_barrier                                                  // 0000000094D0: BF8A0000
	v_mfma_f32_16x16x16_bf16 v[148:151], v[52:53], a[24:25], 0 // 0000000094D4: D3E10094 12023134
	ds_read_b128 a[96:99], v12                                 // 0000000094DC: DBFE0000 6000000C
	buffer_load_dword v40, v1, s[8:11], 0 idxen                // 0000000094E4: E0502000 80022801
	v_mfma_f32_16x16x16_bf16 v[148:151], v[54:55], a[28:29], v[148:151]// 0000000094EC: D3E10094 16523936
	v_mul_f32_e32 v140, s48, v140                              // 0000000094F4: 0B191830
	v_mul_f32_e32 v144, s48, v144                              // 0000000094F8: 0B212030
	s_nop 0                                                    // 0000000094FC: BF800000
	v_mfma_f32_16x16x16_bf16 v[148:151], v[56:57], a[32:33], v[148:151]// 000000009500: D3E10094 16524138
	ds_read_b128 a[100:103], v12 offset:512                    // 000000009508: DBFE0200 6400000C
	buffer_load_dword v41, v2, s[8:11], 0 idxen                // 000000009510: E0502000 80022902
	v_mfma_f32_16x16x16_bf16 v[148:151], v[58:59], a[36:37], v[148:151]// 000000009518: D3E10094 1652493A
	v_mfma_f32_16x16x16_bf16 v[148:151], v[60:61], a[40:41], v[148:151]// 000000009520: D3E10094 1652513C
	ds_read_b128 a[104:107], v12 offset:2176                   // 000000009528: DBFE0880 6800000C
	buffer_load_dword v42, v3, s[8:11], 0 idxen                // 000000009530: E0502000 80022A03
	v_mfma_f32_16x16x16_bf16 v[148:151], v[62:63], a[44:45], v[148:151]// 000000009538: D3E10094 1652593E
	v_perm_b32 v100, v37, v36, s63                             // 000000009540: D1ED0064 00FE4925
	v_perm_b32 v101, v37, v36, s64                             // 000000009548: D1ED0065 01024925
	v_mfma_f32_16x16x16_bf16 v[148:151], v[64:65], a[48:49], v[148:151]// 000000009550: D3E10094 16526140
	ds_read_b128 a[108:111], v12 offset:2688                   // 000000009558: DBFE0A80 6C00000C
	buffer_load_dword v43, v4, s[8:11], 0 idxen                // 000000009560: E0502000 80022B04
	v_mfma_f32_16x16x16_bf16 v[148:151], v[66:67], a[52:53], v[148:151]// 000000009568: D3E10094 16526942
	v_perm_b32 v102, v39, v38, s63                             // 000000009570: D1ED0066 00FE4D27
	v_perm_b32 v103, v39, v38, s64                             // 000000009578: D1ED0067 01024D27
	v_mfma_f32_16x16x16_bf16 v[148:151], v[68:69], a[56:57], v[148:151]// 000000009580: D3E10094 16527144
	ds_read_b128 v[108:111], v12 offset:8704                   // 000000009588: D9FE2200 6C00000C
	buffer_load_dword v48, v232, s[20:23], 0 idxen             // 000000009590: E0502000 800530E8
	v_mfma_f32_16x16x16_bf16 v[148:151], v[70:71], a[60:61], v[148:151]// 000000009598: D3E10094 16527946
	v_perm_b32 v104, v45, v44, s63                             // 0000000095A0: D1ED0068 00FE592D
	v_perm_b32 v105, v45, v44, s64                             // 0000000095A8: D1ED0069 0102592D
	v_mfma_f32_16x16x16_bf16 v[148:151], v[72:73], a[64:65], v[148:151]// 0000000095B0: D3E10094 16528148
	ds_read_b128 v[112:115], v12 offset:9216                   // 0000000095B8: D9FE2400 7000000C
	buffer_load_dword v49, v233, s[20:23], 0 idxen             // 0000000095C0: E0502000 800531E9
	v_mfma_f32_16x16x16_bf16 v[148:151], v[74:75], a[68:69], v[148:151]// 0000000095C8: D3E10094 1652894A
	v_perm_b32 v106, v47, v46, s63                             // 0000000095D0: D1ED006A 00FE5D2F
	v_perm_b32 v107, v47, v46, s64                             // 0000000095D8: D1ED006B 01025D2F
	v_mfma_f32_16x16x16_bf16 v[152:155], v[52:53], a[26:27], 0 // 0000000095E0: D3E10098 12023534
	ds_read_b128 v[116:119], v12 offset:10880                  // 0000000095E8: D9FE2A80 7400000C
	buffer_load_dword v50, v234, s[20:23], 0 idxen             // 0000000095F0: E0502000 800532EA
	v_mfma_f32_16x16x16_bf16 v[152:155], v[54:55], a[30:31], v[152:155]// 0000000095F8: D3E10098 16623D36
	v_mov_b32_dpp v143, v140 quad_perm:[3,3,3,3] row_mask:0xf bank_mask:0xf// 000000009600: 7F1E02FA FF00FF8C
	v_mov_b32_dpp v142, v140 quad_perm:[2,2,2,2] row_mask:0xf bank_mask:0xf// 000000009608: 7F1C02FA FF00AA8C
	v_mov_b32_dpp v141, v140 quad_perm:[1,1,1,1] row_mask:0xf bank_mask:0xf// 000000009610: 7F1A02FA FF00558C
	v_mov_b32_dpp v140, v140 quad_perm:[0,0,0,0] row_mask:0xf bank_mask:0xf// 000000009618: 7F1802FA FF00008C
	v_mfma_f32_16x16x16_bf16 v[152:155], v[56:57], a[34:35], v[152:155]// 000000009620: D3E10098 16624538
	ds_read_b128 v[120:123], v12 offset:11392                  // 000000009628: D9FE2C80 7800000C
	buffer_load_dword v51, v235, s[20:23], 0 idxen             // 000000009630: E0502000 800533EB
	v_mfma_f32_16x16x16_bf16 v[152:155], v[58:59], a[38:39], v[152:155]// 000000009638: D3E10098 16624D3A
	v_mov_b32_dpp v147, v144 quad_perm:[3,3,3,3] row_mask:0xf bank_mask:0xf// 000000009640: 7F2602FA FF00FF90
	v_mov_b32_dpp v146, v144 quad_perm:[2,2,2,2] row_mask:0xf bank_mask:0xf// 000000009648: 7F2402FA FF00AA90
	v_mov_b32_dpp v145, v144 quad_perm:[1,1,1,1] row_mask:0xf bank_mask:0xf// 000000009650: 7F2202FA FF005590
	v_mov_b32_dpp v144, v144 quad_perm:[0,0,0,0] row_mask:0xf bank_mask:0xf// 000000009658: 7F2002FA FF000090
	s_add_u32 s60, 0x80, s59                                   // 000000009660: 803C3BFF 00000080
	v_mfma_f32_16x16x16_bf16 v[152:155], v[60:61], a[42:43], v[152:155]// 000000009668: D3E10098 1662553C
	buffer_load_dword v11, s[24:27], 0 idxen lds               // 000000009670: E0512000 8006000B
	v_mfma_f32_16x16x16_bf16 v[152:155], v[62:63], a[46:47], v[152:155]// 000000009678: D3E10098 16625D3E
	s_cmp_lt_u32 s60, s58                                      // 000000009680: BF0A3A3C
	s_cselect_b32 s68, s68, 0                                  // 000000009684: 85448044
	s_cselect_b32 s100, s100, 0                                // 000000009688: 85648064
	s_cselect_b32 s69, s69, 0                                  // 00000000968C: 85458045
	v_mfma_f32_16x16x16_bf16 v[152:155], v[64:65], a[50:51], v[152:155]// 000000009690: D3E10098 16626540
	v_add_u32_e32 v1, s68, v1                                  // 000000009698: 68020244
	v_add_u32_e32 v2, s68, v2                                  // 00000000969C: 68040444
	v_add_u32_e32 v3, s68, v3                                  // 0000000096A0: 68060644
	v_add_u32_e32 v4, s68, v4                                  // 0000000096A4: 68080844
	v_mfma_f32_16x16x16_bf16 v[152:155], v[66:67], a[54:55], v[152:155]// 0000000096A8: D3E10098 16626D42
	v_add_u32_e32 v232, s100, v232                             // 0000000096B0: 69D1D064
	v_add_u32_e32 v233, s100, v233                             // 0000000096B4: 69D3D264
	v_add_u32_e32 v234, s100, v234                             // 0000000096B8: 69D5D464
	v_add_u32_e32 v235, s100, v235                             // 0000000096BC: 69D7D664
	v_mfma_f32_16x16x16_bf16 v[152:155], v[68:69], a[58:59], v[152:155]// 0000000096C0: D3E10098 16627544
	s_mov_b32 m0, s80                                          // 0000000096C8: BEFC0050
	v_add_u32_e32 v11, s69, v11                                // 0000000096CC: 68161645
	v_mfma_f32_16x16x16_bf16 v[152:155], v[70:71], a[62:63], v[152:155]// 0000000096D0: D3E10098 16627D46
	s_cmp_ge_u32 s59, s73                                      // 0000000096D8: BF09493B
	s_cselect_b32 s66, s67, s66                                // 0000000096DC: 85424243
	v_mfma_f32_16x16x16_bf16 v[152:155], v[72:73], a[66:67], v[152:155]// 0000000096E0: D3E10098 16628548
	s_addk_i32 s59, 0x20                                       // 0000000096E8: B73B0020
	s_nop 0                                                    // 0000000096EC: BF800000
	s_cmp_lt_i32 s59, s58                                      // 0000000096F0: BF043A3B
	v_mfma_f32_16x16x16_bf16 v[152:155], v[74:75], a[70:71], v[152:155]// 0000000096F4: D3E10098 16628D4A
	s_cbranch_scc0 label_1105                                  // 0000000096FC: BF84FAB3
	s_waitcnt lgkmcnt(4)                                       // 000000009700: BF8CC47F
	s_barrier                                                  // 000000009704: BF8A0000
	v_mfma_f32_16x16x16_bf16 v[52:55], a[96:97], a[0:1], 0     // 000000009708: D3E10034 1A020160
	v_mul_f32_e32 v148, s47, v148                              // 000000009710: 0B29282F
	v_mul_f32_e32 v149, s47, v149                              // 000000009714: 0B2B2A2F
	v_mfma_f32_16x16x16_bf16 v[52:55], a[98:99], a[2:3], v[52:55]// 000000009718: D3E10034 1CD20562
	ds_write_b32 v13, v44 offset:8704                          // 000000009720: D81A2200 00002C0D
	ds_write_b32 v13, v45 offset:9760                          // 000000009728: D81A2620 00002D0D
	v_mfma_f32_16x16x16_bf16 v[52:55], a[100:101], a[4:5], v[52:55]// 000000009730: D3E10034 1CD20964
	v_mul_f32_e32 v150, s47, v150                              // 000000009738: 0B2D2C2F
	v_mul_f32_e32 v151, s47, v151                              // 00000000973C: 0B2F2E2F
	v_mfma_f32_16x16x16_bf16 v[52:55], a[102:103], a[6:7], v[52:55]// 000000009740: D3E10034 1CD20D66
	ds_write_b32 v13, v46 offset:10880                         // 000000009748: D81A2A80 00002E0D
	ds_write_b32 v13, v47 offset:11936                         // 000000009750: D81A2EA0 00002F0D
	v_mfma_f32_16x16x16_bf16 v[56:59], a[96:97], a[8:9], 0     // 000000009758: D3E10038 1A021160
	v_mul_f32_e32 v152, s47, v152                              // 000000009760: 0B31302F
	v_mul_f32_e32 v153, s47, v153                              // 000000009764: 0B33322F
	v_mfma_f32_16x16x16_bf16 v[56:59], a[98:99], a[10:11], v[56:59]// 000000009768: D3E10038 1CE21562
	ds_write_b64 v22, v[148:149] offset:31232                  // 000000009770: D89A7A00 00009416
	v_mfma_f32_16x16x16_bf16 v[56:59], a[100:101], a[12:13], v[56:59]// 000000009778: D3E10038 1CE21964
	v_mul_f32_e32 v154, s47, v154                              // 000000009780: 0B35342F
	v_mul_f32_e32 v155, s47, v155                              // 000000009784: 0B37362F
	v_mfma_f32_16x16x16_bf16 v[56:59], a[102:103], a[14:15], v[56:59]// 000000009788: D3E10038 1CE21D66
	ds_write_b64 v22, v[150:151] offset:31744                  // 000000009790: D89A7C00 00009616
	v_mfma_f32_16x16x16_bf16 v[60:63], a[96:97], a[16:17], 0   // 000000009798: D3E1003C 1A022160
	buffer_atomic_add_f32 v160, v8, s[32:35], 0 idxen          // 0000000097A0: E1342000 8008A008
	v_mfma_f32_16x16x16_bf16 v[60:63], a[98:99], a[18:19], v[60:63]// 0000000097A8: D3E1003C 1CF22562
	ds_write_b64 v22, v[152:153] offset:32256                  // 0000000097B0: D89A7E00 00009816
	v_mfma_f32_16x16x16_bf16 v[60:63], a[100:101], a[20:21], v[60:63]// 0000000097B8: D3E1003C 1CF22964
	v_mfma_f32_16x16x16_bf16 v[60:63], a[102:103], a[22:23], v[60:63]// 0000000097C0: D3E1003C 1CF22D66
	ds_write_b64 v22, v[154:155] offset:32768                  // 0000000097C8: D89A8000 00009A16
	v_mfma_f32_16x16x16_bf16 v[64:67], a[104:105], a[0:1], 0   // 0000000097D0: D3E10040 1A020168
	buffer_atomic_add_f32 v161, v9, s[32:35], 0 idxen          // 0000000097D8: E1342000 8008A109
	v_mfma_f32_16x16x16_bf16 v[64:67], a[106:107], a[2:3], v[64:67]// 0000000097E0: D3E10040 1D02056A
	ds_read_b128 v[124:127], v14 offset:13056                  // 0000000097E8: D9FE3300 7C00000E
	ds_write_b32 v13, v36                                      // 0000000097F0: D81A0000 0000240D
	v_mfma_f32_16x16x16_bf16 v[64:67], a[108:109], a[4:5], v[64:67]// 0000000097F8: D3E10040 1D02096C
	v_mfma_f32_16x16x16_bf16 v[64:67], a[110:111], a[6:7], v[64:67]// 000000009800: D3E10040 1D020D6E
	v_mfma_f32_16x16x16_bf16 v[68:71], a[104:105], a[8:9], 0   // 000000009808: D3E10044 1A021168
	ds_read_b128 v[128:131], v14 offset:13568                  // 000000009810: D9FE3500 8000000E
	ds_write_b32 v13, v37 offset:1056                          // 000000009818: D81A0420 0000250D
	v_mfma_f32_16x16x16_bf16 v[68:71], a[106:107], a[10:11], v[68:71]// 000000009820: D3E10044 1D12156A
	buffer_atomic_add_f32 v162, v8, s[32:35], 0 idxen offset:128// 000000009828: E1342080 8008A208
	v_mfma_f32_16x16x16_bf16 v[68:71], a[108:109], a[12:13], v[68:71]// 000000009830: D3E10044 1D12196C
	v_mfma_f32_16x16x16_bf16 v[68:71], a[110:111], a[14:15], v[68:71]// 000000009838: D3E10044 1D121D6E
	ds_read_b128 v[132:135], v14 offset:15232                  // 000000009840: D9FE3B80 8400000E
	ds_write_b32 v13, v38 offset:2176                          // 000000009848: D81A0880 0000260D
	v_mfma_f32_16x16x16_bf16 v[72:75], a[104:105], a[16:17], 0 // 000000009850: D3E10048 1A022168
	v_mfma_f32_16x16x16_bf16 v[72:75], a[106:107], a[18:19], v[72:75]// 000000009858: D3E10048 1D22256A
	buffer_atomic_add_f32 v163, v9, s[32:35], 0 idxen offset:128// 000000009860: E1342080 8008A309
	v_mfma_f32_16x16x16_bf16 v[72:75], a[108:109], a[20:21], v[72:75]// 000000009868: D3E10048 1D22296C
	ds_read_b128 v[136:139], v14 offset:15744                  // 000000009870: D9FE3D80 8800000E
	ds_write_b32 v13, v39 offset:3232                          // 000000009878: D81A0CA0 0000270D
	v_mfma_f32_16x16x16_bf16 v[72:75], a[110:111], a[22:23], v[72:75]// 000000009880: D3E10048 1D222D6E
	s_cmp_lt_i32 s74, 12                                       // 000000009888: BF048C4A
	s_cbranch_scc0 label_17A5                                  // 00000000988C: BF8400E6
	s_mov_b32 s60, 0xffe0fffe                                  // 000000009890: BEBC00FF FFE0FFFE
	s_mov_b32 s61, 0xe000fe00                                  // 000000009898: BEBD00FF E000FE00
	s_nop 0                                                    // 0000000098A0: BF800000
	s_add_u32 s62, 0, s46                                      // 0000000098A4: 803E2E80
	s_cmp_lt_i32 s74, s62                                      // 0000000098A8: BF043E4A
	s_cbranch_scc1 label_16EF                                  // 0000000098AC: BF850028
	s_cmp_eq_i32 s74, s62                                      // 0000000098B0: BF003E4A
	s_cbranch_scc1 label_16D4                                  // 0000000098B4: BF85000B
	s_add_u32 s62, 4, s46                                      // 0000000098B8: 803E2E84
	s_cmp_lt_i32 s74, s62                                      // 0000000098BC: BF043E4A
	s_cbranch_scc1 label_170F                                  // 0000000098C0: BF850043
	s_cmp_eq_i32 s74, s62                                      // 0000000098C4: BF003E4A
	s_cbranch_scc1 label_16F4                                  // 0000000098C8: BF850026
	s_add_u32 s62, 8, s46                                      // 0000000098CC: 803E2E88
	s_cmp_lt_i32 s74, s62                                      // 0000000098D0: BF043E4A
	s_cbranch_scc1 label_172F                                  // 0000000098D4: BF85005E
	s_cmp_eq_i32 s74, s62                                      // 0000000098D8: BF003E4A
	s_cbranch_scc1 label_1714                                  // 0000000098DC: BF850041
	s_branch label_1734                                        // 0000000098E0: BF820060

00000000000098e4 <label_16D4>:
	v_cndmask_b32_e64 v52, v52, v178, s[60:61]                 // 0000000098E4: D1000034 00F36534
	s_lshl_b32 s60, s60, 1                                     // 0000000098EC: 8E3C813C
	s_lshl_b32 s61, s61, 1                                     // 0000000098F0: 8E3D813D
	s_and_b32 s60, 0xfffeffff, s60                             // 0000000098F4: 863C3CFF FFFEFFFF
	s_and_b32 s61, 0xfffeffff, s61                             // 0000000098FC: 863D3DFF FFFEFFFF
	v_cndmask_b32_e64 v53, v53, v178, s[60:61]                 // 000000009904: D1000035 00F36535
	s_lshl_b32 s60, s60, 1                                     // 00000000990C: 8E3C813C
	s_lshl_b32 s61, s61, 1                                     // 000000009910: 8E3D813D
	s_and_b32 s60, 0xfffeffff, s60                             // 000000009914: 863C3CFF FFFEFFFF
	s_and_b32 s61, 0xfffeffff, s61                             // 00000000991C: 863D3DFF FFFEFFFF
	v_cndmask_b32_e64 v54, v54, v178, s[60:61]                 // 000000009924: D1000036 00F36536
	s_lshl_b32 s60, s60, 1                                     // 00000000992C: 8E3C813C
	s_lshl_b32 s61, s61, 1                                     // 000000009930: 8E3D813D
	s_and_b32 s60, 0xfffeffff, s60                             // 000000009934: 863C3CFF FFFEFFFF
	s_and_b32 s61, 0xfffeffff, s61                             // 00000000993C: 863D3DFF FFFEFFFF
	v_cndmask_b32_e64 v55, v55, v178, s[60:61]                 // 000000009944: D1000037 00F36537
	s_branch label_170F                                        // 00000000994C: BF820020

0000000000009950 <label_16EF>:
	v_mov_b32_e32 v52, v178                                    // 000000009950: 7E6803B2
	v_mov_b32_e32 v53, v178                                    // 000000009954: 7E6A03B2
	v_mov_b32_e32 v54, v178                                    // 000000009958: 7E6C03B2
	v_mov_b32_e32 v55, v178                                    // 00000000995C: 7E6E03B2
	s_branch label_170F                                        // 000000009960: BF82001B

0000000000009964 <label_16F4>:
	v_cndmask_b32_e64 v56, v56, v178, s[60:61]                 // 000000009964: D1000038 00F36538
	s_lshl_b32 s60, s60, 1                                     // 00000000996C: 8E3C813C
	s_lshl_b32 s61, s61, 1                                     // 000000009970: 8E3D813D
	s_and_b32 s60, 0xfffeffff, s60                             // 000000009974: 863C3CFF FFFEFFFF
	s_and_b32 s61, 0xfffeffff, s61                             // 00000000997C: 863D3DFF FFFEFFFF
	v_cndmask_b32_e64 v57, v57, v178, s[60:61]                 // 000000009984: D1000039 00F36539
	s_lshl_b32 s60, s60, 1                                     // 00000000998C: 8E3C813C
	s_lshl_b32 s61, s61, 1                                     // 000000009990: 8E3D813D
	s_and_b32 s60, 0xfffeffff, s60                             // 000000009994: 863C3CFF FFFEFFFF
	s_and_b32 s61, 0xfffeffff, s61                             // 00000000999C: 863D3DFF FFFEFFFF
	v_cndmask_b32_e64 v58, v58, v178, s[60:61]                 // 0000000099A4: D100003A 00F3653A
	s_lshl_b32 s60, s60, 1                                     // 0000000099AC: 8E3C813C
	s_lshl_b32 s61, s61, 1                                     // 0000000099B0: 8E3D813D
	s_and_b32 s60, 0xfffeffff, s60                             // 0000000099B4: 863C3CFF FFFEFFFF
	s_and_b32 s61, 0xfffeffff, s61                             // 0000000099BC: 863D3DFF FFFEFFFF
	v_cndmask_b32_e64 v59, v59, v178, s[60:61]                 // 0000000099C4: D100003B 00F3653B
	s_branch label_172F                                        // 0000000099CC: BF820020

00000000000099d0 <label_170F>:
	v_mov_b32_e32 v56, v178                                    // 0000000099D0: 7E7003B2
	v_mov_b32_e32 v57, v178                                    // 0000000099D4: 7E7203B2
	v_mov_b32_e32 v58, v178                                    // 0000000099D8: 7E7403B2
	v_mov_b32_e32 v59, v178                                    // 0000000099DC: 7E7603B2
	s_branch label_172F                                        // 0000000099E0: BF82001B

00000000000099e4 <label_1714>:
	v_cndmask_b32_e64 v60, v60, v178, s[60:61]                 // 0000000099E4: D100003C 00F3653C
	s_lshl_b32 s60, s60, 1                                     // 0000000099EC: 8E3C813C
	s_lshl_b32 s61, s61, 1                                     // 0000000099F0: 8E3D813D
	s_and_b32 s60, 0xfffeffff, s60                             // 0000000099F4: 863C3CFF FFFEFFFF
	s_and_b32 s61, 0xfffeffff, s61                             // 0000000099FC: 863D3DFF FFFEFFFF
	v_cndmask_b32_e64 v61, v61, v178, s[60:61]                 // 000000009A04: D100003D 00F3653D
	s_lshl_b32 s60, s60, 1                                     // 000000009A0C: 8E3C813C
	s_lshl_b32 s61, s61, 1                                     // 000000009A10: 8E3D813D
	s_and_b32 s60, 0xfffeffff, s60                             // 000000009A14: 863C3CFF FFFEFFFF
	s_and_b32 s61, 0xfffeffff, s61                             // 000000009A1C: 863D3DFF FFFEFFFF
	v_cndmask_b32_e64 v62, v62, v178, s[60:61]                 // 000000009A24: D100003E 00F3653E
	s_lshl_b32 s60, s60, 1                                     // 000000009A2C: 8E3C813C
	s_lshl_b32 s61, s61, 1                                     // 000000009A30: 8E3D813D
	s_and_b32 s60, 0xfffeffff, s60                             // 000000009A34: 863C3CFF FFFEFFFF
	s_and_b32 s61, 0xfffeffff, s61                             // 000000009A3C: 863D3DFF FFFEFFFF
	v_cndmask_b32_e64 v63, v63, v178, s[60:61]                 // 000000009A44: D100003F 00F3653F
	s_branch label_1734                                        // 000000009A4C: BF820005

0000000000009a50 <label_172F>:
	v_mov_b32_e32 v60, v178                                    // 000000009A50: 7E7803B2
	v_mov_b32_e32 v61, v178                                    // 000000009A54: 7E7A03B2
	v_mov_b32_e32 v62, v178                                    // 000000009A58: 7E7C03B2
	v_mov_b32_e32 v63, v178                                    // 000000009A5C: 7E7E03B2
	s_branch label_1734                                        // 000000009A60: BF820000

0000000000009a64 <label_1734>:
	s_addk_i32 s74, 0x1                                        // 000000009A64: B74A0001
	s_add_u32 s62, 0, s46                                      // 000000009A68: 803E2E80
	s_cmp_lt_i32 s74, s62                                      // 000000009A6C: BF043E4A
	s_cbranch_scc1 label_1760                                  // 000000009A70: BF850028
	s_cmp_eq_i32 s74, s62                                      // 000000009A74: BF003E4A
	s_cbranch_scc1 label_1745                                  // 000000009A78: BF85000B
	s_add_u32 s62, 4, s46                                      // 000000009A7C: 803E2E84
	s_cmp_lt_i32 s74, s62                                      // 000000009A80: BF043E4A
	s_cbranch_scc1 label_1780                                  // 000000009A84: BF850043
	s_cmp_eq_i32 s74, s62                                      // 000000009A88: BF003E4A
	s_cbranch_scc1 label_1765                                  // 000000009A8C: BF850026
	s_add_u32 s62, 8, s46                                      // 000000009A90: 803E2E88
	s_cmp_lt_i32 s74, s62                                      // 000000009A94: BF043E4A
	s_cbranch_scc1 label_17A0                                  // 000000009A98: BF85005E
	s_cmp_eq_i32 s74, s62                                      // 000000009A9C: BF003E4A
	s_cbranch_scc1 label_1785                                  // 000000009AA0: BF850041
	s_branch label_17A5                                        // 000000009AA4: BF820060

0000000000009aa8 <label_1745>:
	v_cndmask_b32_e64 v64, v64, v178, s[60:61]                 // 000000009AA8: D1000040 00F36540
	s_lshl_b32 s60, s60, 1                                     // 000000009AB0: 8E3C813C
	s_lshl_b32 s61, s61, 1                                     // 000000009AB4: 8E3D813D
	s_and_b32 s60, 0xfffeffff, s60                             // 000000009AB8: 863C3CFF FFFEFFFF
	s_and_b32 s61, 0xfffeffff, s61                             // 000000009AC0: 863D3DFF FFFEFFFF
	v_cndmask_b32_e64 v65, v65, v178, s[60:61]                 // 000000009AC8: D1000041 00F36541
	s_lshl_b32 s60, s60, 1                                     // 000000009AD0: 8E3C813C
	s_lshl_b32 s61, s61, 1                                     // 000000009AD4: 8E3D813D
	s_and_b32 s60, 0xfffeffff, s60                             // 000000009AD8: 863C3CFF FFFEFFFF
	s_and_b32 s61, 0xfffeffff, s61                             // 000000009AE0: 863D3DFF FFFEFFFF
	v_cndmask_b32_e64 v66, v66, v178, s[60:61]                 // 000000009AE8: D1000042 00F36542
	s_lshl_b32 s60, s60, 1                                     // 000000009AF0: 8E3C813C
	s_lshl_b32 s61, s61, 1                                     // 000000009AF4: 8E3D813D
	s_and_b32 s60, 0xfffeffff, s60                             // 000000009AF8: 863C3CFF FFFEFFFF
	s_and_b32 s61, 0xfffeffff, s61                             // 000000009B00: 863D3DFF FFFEFFFF
	v_cndmask_b32_e64 v67, v67, v178, s[60:61]                 // 000000009B08: D1000043 00F36543
	s_branch label_1780                                        // 000000009B10: BF820020

0000000000009b14 <label_1760>:
	v_mov_b32_e32 v64, v178                                    // 000000009B14: 7E8003B2
	v_mov_b32_e32 v65, v178                                    // 000000009B18: 7E8203B2
	v_mov_b32_e32 v66, v178                                    // 000000009B1C: 7E8403B2
	v_mov_b32_e32 v67, v178                                    // 000000009B20: 7E8603B2
	s_branch label_1780                                        // 000000009B24: BF82001B

0000000000009b28 <label_1765>:
	v_cndmask_b32_e64 v68, v68, v178, s[60:61]                 // 000000009B28: D1000044 00F36544
	s_lshl_b32 s60, s60, 1                                     // 000000009B30: 8E3C813C
	s_lshl_b32 s61, s61, 1                                     // 000000009B34: 8E3D813D
	s_and_b32 s60, 0xfffeffff, s60                             // 000000009B38: 863C3CFF FFFEFFFF
	s_and_b32 s61, 0xfffeffff, s61                             // 000000009B40: 863D3DFF FFFEFFFF
	v_cndmask_b32_e64 v69, v69, v178, s[60:61]                 // 000000009B48: D1000045 00F36545
	s_lshl_b32 s60, s60, 1                                     // 000000009B50: 8E3C813C
	s_lshl_b32 s61, s61, 1                                     // 000000009B54: 8E3D813D
	s_and_b32 s60, 0xfffeffff, s60                             // 000000009B58: 863C3CFF FFFEFFFF
	s_and_b32 s61, 0xfffeffff, s61                             // 000000009B60: 863D3DFF FFFEFFFF
	v_cndmask_b32_e64 v70, v70, v178, s[60:61]                 // 000000009B68: D1000046 00F36546
	s_lshl_b32 s60, s60, 1                                     // 000000009B70: 8E3C813C
	s_lshl_b32 s61, s61, 1                                     // 000000009B74: 8E3D813D
	s_and_b32 s60, 0xfffeffff, s60                             // 000000009B78: 863C3CFF FFFEFFFF
	s_and_b32 s61, 0xfffeffff, s61                             // 000000009B80: 863D3DFF FFFEFFFF
	v_cndmask_b32_e64 v71, v71, v178, s[60:61]                 // 000000009B88: D1000047 00F36547
	s_branch label_17A0                                        // 000000009B90: BF820020

0000000000009b94 <label_1780>:
	v_mov_b32_e32 v68, v178                                    // 000000009B94: 7E8803B2
	v_mov_b32_e32 v69, v178                                    // 000000009B98: 7E8A03B2
	v_mov_b32_e32 v70, v178                                    // 000000009B9C: 7E8C03B2
	v_mov_b32_e32 v71, v178                                    // 000000009BA0: 7E8E03B2
	s_branch label_17A0                                        // 000000009BA4: BF82001B

0000000000009ba8 <label_1785>:
	v_cndmask_b32_e64 v72, v72, v178, s[60:61]                 // 000000009BA8: D1000048 00F36548
	s_lshl_b32 s60, s60, 1                                     // 000000009BB0: 8E3C813C
	s_lshl_b32 s61, s61, 1                                     // 000000009BB4: 8E3D813D
	s_and_b32 s60, 0xfffeffff, s60                             // 000000009BB8: 863C3CFF FFFEFFFF
	s_and_b32 s61, 0xfffeffff, s61                             // 000000009BC0: 863D3DFF FFFEFFFF
	v_cndmask_b32_e64 v73, v73, v178, s[60:61]                 // 000000009BC8: D1000049 00F36549
	s_lshl_b32 s60, s60, 1                                     // 000000009BD0: 8E3C813C
	s_lshl_b32 s61, s61, 1                                     // 000000009BD4: 8E3D813D
	s_and_b32 s60, 0xfffeffff, s60                             // 000000009BD8: 863C3CFF FFFEFFFF
	s_and_b32 s61, 0xfffeffff, s61                             // 000000009BE0: 863D3DFF FFFEFFFF
	v_cndmask_b32_e64 v74, v74, v178, s[60:61]                 // 000000009BE8: D100004A 00F3654A
	s_lshl_b32 s60, s60, 1                                     // 000000009BF0: 8E3C813C
	s_lshl_b32 s61, s61, 1                                     // 000000009BF4: 8E3D813D
	s_and_b32 s60, 0xfffeffff, s60                             // 000000009BF8: 863C3CFF FFFEFFFF
	s_and_b32 s61, 0xfffeffff, s61                             // 000000009C00: 863D3DFF FFFEFFFF
	v_cndmask_b32_e64 v75, v75, v178, s[60:61]                 // 000000009C08: D100004B 00F3654B
	s_branch label_17A5                                        // 000000009C10: BF820005

0000000000009c14 <label_17A0>:
	v_mov_b32_e32 v72, v178                                    // 000000009C14: 7E9003B2
	v_mov_b32_e32 v73, v178                                    // 000000009C18: 7E9203B2
	v_mov_b32_e32 v74, v178                                    // 000000009C1C: 7E9403B2
	v_mov_b32_e32 v75, v178                                    // 000000009C20: 7E9603B2
	s_branch label_17A5                                        // 000000009C24: BF820000

0000000000009c28 <label_17A5>:
	s_cmp_lt_i32 s84, 0xc0                                     // 000000009C28: BF04FF54 000000C0
	s_cbranch_scc0 label_181E                                  // 000000009C30: BF84006D
	s_cmp_le_i32 s84, 64                                       // 000000009C34: BF05C054
	s_cbranch_scc1 label_17B1                                  // 000000009C38: BF850007
	s_cmp_le_i32 s84, 0x80                                     // 000000009C3C: BF05FF54 00000080
	s_cbranch_scc1 label_17D5                                  // 000000009C44: BF85001F
	s_cmp_lt_i32 s84, 0xc0                                     // 000000009C48: BF04FF54 000000C0
	s_cbranch_scc1 label_17F9                                  // 000000009C50: BF850040
	s_branch label_181E                                        // 000000009C54: BF820064

0000000000009c58 <label_17B1>:
	s_mov_b32 s60, 0                                           // 000000009C58: BEBC0080
	v_and_b32_e32 v32, 15, v0                                  // 000000009C5C: 2640008F
	v_add_u32_e64 v32, v32, s60                                // 000000009C60: D1340020 00007920
	v_mul_i32_i24_e64 v33, s46, 16                             // 000000009C68: D1060021 0001202E
	v_add_u32_e32 v32, v32, v33                                // 000000009C70: 68404320
	v_cmp_lt_u32_e64 s[60:61], v32, s84                        // 000000009C74: D0C9003C 0000A920
	s_nop 1                                                    // 000000009C7C: BF800001
	v_cndmask_b32_e64 v52, v178, v52, s[60:61]                 // 000000009C80: D1000034 00F269B2
	v_cndmask_b32_e64 v64, v178, v64, s[60:61]                 // 000000009C88: D1000040 00F281B2
	v_cndmask_b32_e64 v53, v178, v53, s[60:61]                 // 000000009C90: D1000035 00F26BB2
	v_cndmask_b32_e64 v65, v178, v65, s[60:61]                 // 000000009C98: D1000041 00F283B2
	v_cndmask_b32_e64 v54, v178, v54, s[60:61]                 // 000000009CA0: D1000036 00F26DB2
	v_cndmask_b32_e64 v66, v178, v66, s[60:61]                 // 000000009CA8: D1000042 00F285B2
	v_cndmask_b32_e64 v55, v178, v55, s[60:61]                 // 000000009CB0: D1000037 00F26FB2
	v_cndmask_b32_e64 v67, v178, v67, s[60:61]                 // 000000009CB8: D1000043 00F287B2
	s_branch label_17F0                                        // 000000009CC0: BF82001B

0000000000009cc4 <label_17D5>:
	s_mov_b32 s60, 64                                          // 000000009CC4: BEBC00C0
	v_and_b32_e32 v32, 15, v0                                  // 000000009CC8: 2640008F
	v_add_u32_e64 v32, v32, s60                                // 000000009CCC: D1340020 00007920
	v_mul_i32_i24_e64 v33, s46, 16                             // 000000009CD4: D1060021 0001202E
	v_add_u32_e32 v32, v32, v33                                // 000000009CDC: 68404320
	v_cmp_lt_u32_e64 s[60:61], v32, s84                        // 000000009CE0: D0C9003C 0000A920
	s_nop 1                                                    // 000000009CE8: BF800001
	v_cndmask_b32_e64 v56, v178, v56, s[60:61]                 // 000000009CEC: D1000038 00F271B2
	v_cndmask_b32_e64 v68, v178, v68, s[60:61]                 // 000000009CF4: D1000044 00F289B2
	v_cndmask_b32_e64 v57, v178, v57, s[60:61]                 // 000000009CFC: D1000039 00F273B2
	v_cndmask_b32_e64 v69, v178, v69, s[60:61]                 // 000000009D04: D1000045 00F28BB2
	v_cndmask_b32_e64 v58, v178, v58, s[60:61]                 // 000000009D0C: D100003A 00F275B2
	v_cndmask_b32_e64 v70, v178, v70, s[60:61]                 // 000000009D14: D1000046 00F28DB2
	v_cndmask_b32_e64 v59, v178, v59, s[60:61]                 // 000000009D1C: D100003B 00F277B2
	v_cndmask_b32_e64 v71, v178, v71, s[60:61]                 // 000000009D24: D1000047 00F28FB2
	s_branch label_1815                                        // 000000009D2C: BF820025

0000000000009d30 <label_17F0>:
	v_mov_b32_e32 v56, v178                                    // 000000009D30: 7E7003B2
	v_mov_b32_e32 v68, v178                                    // 000000009D34: 7E8803B2
	v_mov_b32_e32 v57, v178                                    // 000000009D38: 7E7203B2
	v_mov_b32_e32 v69, v178                                    // 000000009D3C: 7E8A03B2
	v_mov_b32_e32 v58, v178                                    // 000000009D40: 7E7403B2
	v_mov_b32_e32 v70, v178                                    // 000000009D44: 7E8C03B2
	v_mov_b32_e32 v59, v178                                    // 000000009D48: 7E7603B2
	v_mov_b32_e32 v71, v178                                    // 000000009D4C: 7E8E03B2
	s_branch label_1815                                        // 000000009D50: BF82001C

0000000000009d54 <label_17F9>:
	s_mov_b32 s60, 0x80                                        // 000000009D54: BEBC00FF 00000080
	v_and_b32_e32 v32, 15, v0                                  // 000000009D5C: 2640008F
	v_add_u32_e64 v32, v32, s60                                // 000000009D60: D1340020 00007920
	v_mul_i32_i24_e64 v33, s46, 16                             // 000000009D68: D1060021 0001202E
	v_add_u32_e32 v32, v32, v33                                // 000000009D70: 68404320
	v_cmp_lt_u32_e64 s[60:61], v32, s84                        // 000000009D74: D0C9003C 0000A920
	s_nop 1                                                    // 000000009D7C: BF800001
	v_cndmask_b32_e64 v60, v178, v60, s[60:61]                 // 000000009D80: D100003C 00F279B2
	v_cndmask_b32_e64 v72, v178, v72, s[60:61]                 // 000000009D88: D1000048 00F291B2
	v_cndmask_b32_e64 v61, v178, v61, s[60:61]                 // 000000009D90: D100003D 00F27BB2
	v_cndmask_b32_e64 v73, v178, v73, s[60:61]                 // 000000009D98: D1000049 00F293B2
	v_cndmask_b32_e64 v62, v178, v62, s[60:61]                 // 000000009DA0: D100003E 00F27DB2
	v_cndmask_b32_e64 v74, v178, v74, s[60:61]                 // 000000009DA8: D100004A 00F295B2
	v_cndmask_b32_e64 v63, v178, v63, s[60:61]                 // 000000009DB0: D100003F 00F27FB2
	v_cndmask_b32_e64 v75, v178, v75, s[60:61]                 // 000000009DB8: D100004B 00F297B2
	s_branch label_181E                                        // 000000009DC0: BF820009

0000000000009dc4 <label_1815>:
	v_mov_b32_e32 v60, v178                                    // 000000009DC4: 7E7803B2
	v_mov_b32_e32 v72, v178                                    // 000000009DC8: 7E9003B2
	v_mov_b32_e32 v61, v178                                    // 000000009DCC: 7E7A03B2
	v_mov_b32_e32 v73, v178                                    // 000000009DD0: 7E9203B2
	v_mov_b32_e32 v62, v178                                    // 000000009DD4: 7E7C03B2
	v_mov_b32_e32 v74, v178                                    // 000000009DD8: 7E9403B2
	v_mov_b32_e32 v63, v178                                    // 000000009DDC: 7E7E03B2
	v_mov_b32_e32 v75, v178                                    // 000000009DE0: 7E9603B2
	s_branch label_181E                                        // 000000009DE4: BF820000

0000000000009de8 <label_181E>:
	s_addk_i32 s74, 0x1                                        // 000000009DE8: B74A0001
	s_waitcnt lgkmcnt(8)                                       // 000000009DEC: BF8CC87F
	s_barrier                                                  // 000000009DF0: BF8A0000
	v_mfma_f32_16x16x16_bf16 v[76:79], v[108:109], a[72:73], 0 // 000000009DF4: D3E1004C 1202916C
	v_fma_f32 v52, v52, s57, -v140                             // 000000009DFC: D1CB0034 86307334
	v_fma_f32 v53, v53, s57, -v141                             // 000000009E04: D1CB0035 86347335
	v_fma_f32 v54, v54, s57, -v142                             // 000000009E0C: D1CB0036 86387336
	v_fma_f32 v55, v55, s57, -v143                             // 000000009E14: D1CB0037 863C7337
	v_fma_f32 v56, v56, s57, -v140                             // 000000009E1C: D1CB0038 86307338
	v_fma_f32 v57, v57, s57, -v141                             // 000000009E24: D1CB0039 86347339
	v_mfma_f32_16x16x16_bf16 v[76:79], v[110:111], a[74:75], v[76:79]// 000000009E2C: D3E1004C 1532956E
	ds_read_b128 a[96:99], v14 offset:4352                     // 000000009E34: DBFE1100 6000000E
	ds_read_b128 a[100:103], v14 offset:4864                   // 000000009E3C: DBFE1300 6400000E
	v_mfma_f32_16x16x16_bf16 v[76:79], v[112:113], a[76:77], v[76:79]// 000000009E44: D3E1004C 15329970
	v_fma_f32 v58, v58, s57, -v142                             // 000000009E4C: D1CB003A 8638733A
	v_fma_f32 v59, v59, s57, -v143                             // 000000009E54: D1CB003B 863C733B
	v_fma_f32 v60, v60, s57, -v140                             // 000000009E5C: D1CB003C 8630733C
	v_fma_f32 v61, v61, s57, -v141                             // 000000009E64: D1CB003D 8634733D
	v_fma_f32 v62, v62, s57, -v142                             // 000000009E6C: D1CB003E 8638733E
	v_fma_f32 v63, v63, s57, -v143                             // 000000009E74: D1CB003F 863C733F
	v_mfma_f32_16x16x16_bf16 v[76:79], v[114:115], a[78:79], v[76:79]// 000000009E7C: D3E1004C 15329D72
	v_fma_f32 v64, v64, s57, -v144                             // 000000009E84: D1CB0040 86407340
	v_fma_f32 v65, v65, s57, -v145                             // 000000009E8C: D1CB0041 86447341
	v_fma_f32 v66, v66, s57, -v146                             // 000000009E94: D1CB0042 86487342
	v_fma_f32 v67, v67, s57, -v147                             // 000000009E9C: D1CB0043 864C7343
	v_fma_f32 v68, v68, s57, -v144                             // 000000009EA4: D1CB0044 86407344
	v_fma_f32 v69, v69, s57, -v145                             // 000000009EAC: D1CB0045 86447345
	v_mfma_f32_16x16x16_bf16 v[80:83], v[108:109], a[80:81], 0 // 000000009EB4: D3E10050 1202A16C
	v_fma_f32 v70, v70, s57, -v146                             // 000000009EBC: D1CB0046 86487346
	v_fma_f32 v71, v71, s57, -v147                             // 000000009EC4: D1CB0047 864C7347
	v_fma_f32 v72, v72, s57, -v144                             // 000000009ECC: D1CB0048 86407348
	v_fma_f32 v73, v73, s57, -v145                             // 000000009ED4: D1CB0049 86447349
	v_fma_f32 v74, v74, s57, -v146                             // 000000009EDC: D1CB004A 8648734A
	v_fma_f32 v75, v75, s57, -v147                             // 000000009EE4: D1CB004B 864C734B
	v_mfma_f32_16x16x16_bf16 v[80:83], v[110:111], a[82:83], v[80:83]// 000000009EEC: D3E10050 1542A56E
	ds_read_b128 a[104:107], v14 offset:6528                   // 000000009EF4: DBFE1980 6800000E
	ds_read_b128 a[108:111], v14 offset:7040                   // 000000009EFC: DBFE1B80 6C00000E
	v_mfma_f32_16x16x16_bf16 v[80:83], v[112:113], a[84:85], v[80:83]// 000000009F04: D3E10050 1542A970
	v_exp_f32_e32 v52, v52                                     // 000000009F0C: 7E684134
	v_exp_f32_e32 v53, v53                                     // 000000009F10: 7E6A4135
	v_mfma_f32_16x16x16_bf16 v[80:83], v[114:115], a[86:87], v[80:83]// 000000009F14: D3E10050 1542AD72
	v_exp_f32_e32 v54, v54                                     // 000000009F1C: 7E6C4136
	v_exp_f32_e32 v55, v55                                     // 000000009F20: 7E6E4137
	v_mfma_f32_16x16x16_bf16 v[84:87], v[108:109], a[88:89], 0 // 000000009F24: D3E10054 1202B16C
	v_exp_f32_e32 v56, v56                                     // 000000009F2C: 7E704138
	v_exp_f32_e32 v57, v57                                     // 000000009F30: 7E724139
	v_mfma_f32_16x16x16_bf16 v[84:87], v[110:111], a[90:91], v[84:87]// 000000009F34: D3E10054 1552B56E
	ds_read_b64 v[156:157], v21 offset:31232                   // 000000009F3C: D8EC7A00 9C000015
	ds_read_b64 v[158:159], v21 offset:33280                   // 000000009F44: D8EC8200 9E000015
	v_mfma_f32_16x16x16_bf16 v[84:87], v[112:113], a[92:93], v[84:87]// 000000009F4C: D3E10054 1552B970
	v_exp_f32_e32 v58, v58                                     // 000000009F54: 7E74413A
	v_exp_f32_e32 v59, v59                                     // 000000009F58: 7E76413B
	v_mfma_f32_16x16x16_bf16 v[84:87], v[114:115], a[94:95], v[84:87]// 000000009F5C: D3E10054 1552BD72
	ds_read_b64 v[160:161], v21 offset:35328                   // 000000009F64: D8EC8A00 A0000015
	ds_read_b64 v[162:163], v21 offset:37376                   // 000000009F6C: D8EC9200 A2000015
	v_mfma_f32_16x16x16_bf16 v[88:91], v[116:117], a[72:73], 0 // 000000009F74: D3E10058 12029174
	v_exp_f32_e32 v60, v60                                     // 000000009F7C: 7E78413C
	v_exp_f32_e32 v61, v61                                     // 000000009F80: 7E7A413D
	v_mfma_f32_16x16x16_bf16 v[88:91], v[118:119], a[74:75], v[88:91]// 000000009F84: D3E10058 15629576
	v_exp_f32_e32 v62, v62                                     // 000000009F8C: 7E7C413E
	v_exp_f32_e32 v63, v63                                     // 000000009F90: 7E7E413F
	v_mfma_f32_16x16x16_bf16 v[88:91], v[120:121], a[76:77], v[88:91]// 000000009F94: D3E10058 15629978
	v_exp_f32_e32 v64, v64                                     // 000000009F9C: 7E804140
	v_exp_f32_e32 v65, v65                                     // 000000009FA0: 7E824141
	v_mfma_f32_16x16x16_bf16 v[88:91], v[122:123], a[78:79], v[88:91]// 000000009FA4: D3E10058 15629D7A
	v_exp_f32_e32 v66, v66                                     // 000000009FAC: 7E844142
	v_exp_f32_e32 v67, v67                                     // 000000009FB0: 7E864143
	v_mfma_f32_16x16x16_bf16 v[92:95], v[116:117], a[80:81], 0 // 000000009FB4: D3E1005C 1202A174
	v_exp_f32_e32 v68, v68                                     // 000000009FBC: 7E884144
	v_exp_f32_e32 v69, v69                                     // 000000009FC0: 7E8A4145
	v_mfma_f32_16x16x16_bf16 v[92:95], v[118:119], a[82:83], v[92:95]// 000000009FC4: D3E1005C 1572A576
	v_exp_f32_e32 v70, v70                                     // 000000009FCC: 7E8C4146
	v_exp_f32_e32 v71, v71                                     // 000000009FD0: 7E8E4147
	v_mfma_f32_16x16x16_bf16 v[92:95], v[120:121], a[84:85], v[92:95]// 000000009FD4: D3E1005C 1572A978
	v_exp_f32_e32 v72, v72                                     // 000000009FDC: 7E904148
	v_exp_f32_e32 v73, v73                                     // 000000009FE0: 7E924149
	v_mfma_f32_16x16x16_bf16 v[92:95], v[122:123], a[86:87], v[92:95]// 000000009FE4: D3E1005C 1572AD7A
	v_exp_f32_e32 v74, v74                                     // 000000009FEC: 7E94414A
	v_exp_f32_e32 v75, v75                                     // 000000009FF0: 7E96414B
	v_mfma_f32_16x16x16_bf16 v[96:99], v[116:117], a[88:89], 0 // 000000009FF4: D3E10060 1202B174
	v_cmp_u_f32_e64 s[78:79], v52, v52                         // 000000009FFC: D048004E 00026934
	v_add3_u32 v228, v52, v231, 1                              // 00000000A004: D1FF00E4 0207CF34
	v_cndmask_b32_e64 v32, v228, v230, s[78:79]                // 00000000A00C: D1000020 013BCDE4
	v_cmp_u_f32_e64 s[78:79], v53, v53                         // 00000000A014: D048004E 00026B35
	v_add3_u32 v228, v53, v231, 1                              // 00000000A01C: D1FF00E4 0207CF35
	v_cndmask_b32_e64 v33, v228, v230, s[78:79]                // 00000000A024: D1000021 013BCDE4
	v_perm_b32 v164, v33, v32, s64                             // 00000000A02C: D1ED00A4 01024121
	v_cmp_u_f32_e64 s[78:79], v54, v54                         // 00000000A034: D048004E 00026D36
	v_add3_u32 v228, v54, v231, 1                              // 00000000A03C: D1FF00E4 0207CF36
	v_cndmask_b32_e64 v32, v228, v230, s[78:79]                // 00000000A044: D1000020 013BCDE4
	v_cmp_u_f32_e64 s[78:79], v55, v55                         // 00000000A04C: D048004E 00026F37
	v_add3_u32 v228, v55, v231, 1                              // 00000000A054: D1FF00E4 0207CF37
	v_cndmask_b32_e64 v33, v228, v230, s[78:79]                // 00000000A05C: D1000021 013BCDE4
	v_perm_b32 v165, v33, v32, s64                             // 00000000A064: D1ED00A5 01024121
	v_cmp_u_f32_e64 s[78:79], v56, v56                         // 00000000A06C: D048004E 00027138
	v_add3_u32 v228, v56, v231, 1                              // 00000000A074: D1FF00E4 0207CF38
	v_cndmask_b32_e64 v32, v228, v230, s[78:79]                // 00000000A07C: D1000020 013BCDE4
	v_cmp_u_f32_e64 s[78:79], v57, v57                         // 00000000A084: D048004E 00027339
	v_add3_u32 v228, v57, v231, 1                              // 00000000A08C: D1FF00E4 0207CF39
	v_cndmask_b32_e64 v33, v228, v230, s[78:79]                // 00000000A094: D1000021 013BCDE4
	v_perm_b32 v166, v33, v32, s64                             // 00000000A09C: D1ED00A6 01024121
	v_cmp_u_f32_e64 s[78:79], v58, v58                         // 00000000A0A4: D048004E 0002753A
	v_add3_u32 v228, v58, v231, 1                              // 00000000A0AC: D1FF00E4 0207CF3A
	v_cndmask_b32_e64 v32, v228, v230, s[78:79]                // 00000000A0B4: D1000020 013BCDE4
	v_cmp_u_f32_e64 s[78:79], v59, v59                         // 00000000A0BC: D048004E 0002773B
	v_add3_u32 v228, v59, v231, 1                              // 00000000A0C4: D1FF00E4 0207CF3B
	v_cndmask_b32_e64 v33, v228, v230, s[78:79]                // 00000000A0CC: D1000021 013BCDE4
	v_perm_b32 v167, v33, v32, s64                             // 00000000A0D4: D1ED00A7 01024121
	v_cmp_u_f32_e64 s[78:79], v60, v60                         // 00000000A0DC: D048004E 0002793C
	v_add3_u32 v228, v60, v231, 1                              // 00000000A0E4: D1FF00E4 0207CF3C
	v_cndmask_b32_e64 v32, v228, v230, s[78:79]                // 00000000A0EC: D1000020 013BCDE4
	v_cmp_u_f32_e64 s[78:79], v61, v61                         // 00000000A0F4: D048004E 00027B3D
	v_add3_u32 v228, v61, v231, 1                              // 00000000A0FC: D1FF00E4 0207CF3D
	v_cndmask_b32_e64 v33, v228, v230, s[78:79]                // 00000000A104: D1000021 013BCDE4
	v_perm_b32 v168, v33, v32, s64                             // 00000000A10C: D1ED00A8 01024121
	v_cmp_u_f32_e64 s[78:79], v62, v62                         // 00000000A114: D048004E 00027D3E
	v_add3_u32 v228, v62, v231, 1                              // 00000000A11C: D1FF00E4 0207CF3E
	v_cndmask_b32_e64 v32, v228, v230, s[78:79]                // 00000000A124: D1000020 013BCDE4
	v_cmp_u_f32_e64 s[78:79], v63, v63                         // 00000000A12C: D048004E 00027F3F
	v_add3_u32 v228, v63, v231, 1                              // 00000000A134: D1FF00E4 0207CF3F
	v_cndmask_b32_e64 v33, v228, v230, s[78:79]                // 00000000A13C: D1000021 013BCDE4
	v_perm_b32 v169, v33, v32, s64                             // 00000000A144: D1ED00A9 01024121
	v_mfma_f32_16x16x16_bf16 v[96:99], v[118:119], a[90:91], v[96:99]// 00000000A14C: D3E10060 1582B576
	v_cmp_u_f32_e64 s[78:79], v64, v64                         // 00000000A154: D048004E 00028140
	v_add3_u32 v228, v64, v231, 1                              // 00000000A15C: D1FF00E4 0207CF40
	v_cndmask_b32_e64 v32, v228, v230, s[78:79]                // 00000000A164: D1000020 013BCDE4
	v_cmp_u_f32_e64 s[78:79], v65, v65                         // 00000000A16C: D048004E 00028341
	v_add3_u32 v228, v65, v231, 1                              // 00000000A174: D1FF00E4 0207CF41
	v_cndmask_b32_e64 v33, v228, v230, s[78:79]                // 00000000A17C: D1000021 013BCDE4
	v_perm_b32 v170, v33, v32, s64                             // 00000000A184: D1ED00AA 01024121
	v_cmp_u_f32_e64 s[78:79], v66, v66                         // 00000000A18C: D048004E 00028542
	v_add3_u32 v228, v66, v231, 1                              // 00000000A194: D1FF00E4 0207CF42
	v_cndmask_b32_e64 v32, v228, v230, s[78:79]                // 00000000A19C: D1000020 013BCDE4
	v_cmp_u_f32_e64 s[78:79], v67, v67                         // 00000000A1A4: D048004E 00028743
	v_add3_u32 v228, v67, v231, 1                              // 00000000A1AC: D1FF00E4 0207CF43
	v_cndmask_b32_e64 v33, v228, v230, s[78:79]                // 00000000A1B4: D1000021 013BCDE4
	v_perm_b32 v171, v33, v32, s64                             // 00000000A1BC: D1ED00AB 01024121
	v_cmp_u_f32_e64 s[78:79], v68, v68                         // 00000000A1C4: D048004E 00028944
	v_add3_u32 v228, v68, v231, 1                              // 00000000A1CC: D1FF00E4 0207CF44
	v_cndmask_b32_e64 v32, v228, v230, s[78:79]                // 00000000A1D4: D1000020 013BCDE4
	v_cmp_u_f32_e64 s[78:79], v69, v69                         // 00000000A1DC: D048004E 00028B45
	v_add3_u32 v228, v69, v231, 1                              // 00000000A1E4: D1FF00E4 0207CF45
	v_cndmask_b32_e64 v33, v228, v230, s[78:79]                // 00000000A1EC: D1000021 013BCDE4
	v_perm_b32 v172, v33, v32, s64                             // 00000000A1F4: D1ED00AC 01024121
	v_cmp_u_f32_e64 s[78:79], v70, v70                         // 00000000A1FC: D048004E 00028D46
	v_add3_u32 v228, v70, v231, 1                              // 00000000A204: D1FF00E4 0207CF46
	v_cndmask_b32_e64 v32, v228, v230, s[78:79]                // 00000000A20C: D1000020 013BCDE4
	v_cmp_u_f32_e64 s[78:79], v71, v71                         // 00000000A214: D048004E 00028F47
	v_add3_u32 v228, v71, v231, 1                              // 00000000A21C: D1FF00E4 0207CF47
	v_cndmask_b32_e64 v33, v228, v230, s[78:79]                // 00000000A224: D1000021 013BCDE4
	v_perm_b32 v173, v33, v32, s64                             // 00000000A22C: D1ED00AD 01024121
	v_cmp_u_f32_e64 s[78:79], v72, v72                         // 00000000A234: D048004E 00029148
	v_add3_u32 v228, v72, v231, 1                              // 00000000A23C: D1FF00E4 0207CF48
	v_cndmask_b32_e64 v32, v228, v230, s[78:79]                // 00000000A244: D1000020 013BCDE4
	v_cmp_u_f32_e64 s[78:79], v73, v73                         // 00000000A24C: D048004E 00029349
	v_add3_u32 v228, v73, v231, 1                              // 00000000A254: D1FF00E4 0207CF49
	v_cndmask_b32_e64 v33, v228, v230, s[78:79]                // 00000000A25C: D1000021 013BCDE4
	v_perm_b32 v174, v33, v32, s64                             // 00000000A264: D1ED00AE 01024121
	v_cmp_u_f32_e64 s[78:79], v74, v74                         // 00000000A26C: D048004E 0002954A
	v_add3_u32 v228, v74, v231, 1                              // 00000000A274: D1FF00E4 0207CF4A
	v_cndmask_b32_e64 v32, v228, v230, s[78:79]                // 00000000A27C: D1000020 013BCDE4
	v_cmp_u_f32_e64 s[78:79], v75, v75                         // 00000000A284: D048004E 0002974B
	v_add3_u32 v228, v75, v231, 1                              // 00000000A28C: D1FF00E4 0207CF4B
	v_cndmask_b32_e64 v33, v228, v230, s[78:79]                // 00000000A294: D1000021 013BCDE4
	v_perm_b32 v175, v33, v32, s64                             // 00000000A29C: D1ED00AF 01024121
	v_mfma_f32_16x16x16_bf16 v[96:99], v[120:121], a[92:93], v[96:99]// 00000000A2A4: D3E10060 1582B978
	v_add_u32_e32 v6, s66, v6                                  // 00000000A2AC: 680C0C42
	v_add_u32_e32 v7, s66, v7                                  // 00000000A2B0: 680E0E42
	v_add_u32_e32 v8, s66, v8                                  // 00000000A2B4: 68101042
	v_add_u32_e32 v9, s66, v9                                  // 00000000A2B8: 68121242
	v_mfma_f32_16x16x16_bf16 v[96:99], v[122:123], a[94:95], v[96:99]// 00000000A2BC: D3E10060 1582BD7A
	s_waitcnt lgkmcnt(0)                                       // 00000000A2C4: BF8CC07F
	s_barrier                                                  // 00000000A2C8: BF8A0000
	v_mfma_f32_16x16x16_bf16 v[180:183], v[124:125], v[164:165], v[180:183]// 00000000A2CC: D3E100B4 06D3497C
	v_subrev_f32_dpp v76, v176, v76 quad_perm:[0,0,0,0] row_mask:0xf bank_mask:0xf// 00000000A2D4: 069898FA FF0000B0
	v_subrev_f32_dpp v77, v176, v77 quad_perm:[1,1,1,1] row_mask:0xf bank_mask:0xf// 00000000A2DC: 069A9AFA FF0055B0
	v_subrev_f32_dpp v78, v176, v78 quad_perm:[2,2,2,2] row_mask:0xf bank_mask:0xf// 00000000A2E4: 069C9CFA FF00AAB0
	v_subrev_f32_dpp v79, v176, v79 quad_perm:[3,3,3,3] row_mask:0xf bank_mask:0xf// 00000000A2EC: 069E9EFA FF00FFB0
	v_subrev_f32_dpp v80, v176, v80 quad_perm:[0,0,0,0] row_mask:0xf bank_mask:0xf// 00000000A2F4: 06A0A0FA FF0000B0
	v_subrev_f32_dpp v81, v176, v81 quad_perm:[1,1,1,1] row_mask:0xf bank_mask:0xf// 00000000A2FC: 06A2A2FA FF0055B0
	v_mfma_f32_16x16x16_bf16 v[184:187], v[126:127], v[164:165], v[184:187]// 00000000A304: D3E100B8 06E3497E
	v_subrev_f32_dpp v82, v176, v82 quad_perm:[2,2,2,2] row_mask:0xf bank_mask:0xf// 00000000A30C: 06A4A4FA FF00AAB0
	v_subrev_f32_dpp v83, v176, v83 quad_perm:[3,3,3,3] row_mask:0xf bank_mask:0xf// 00000000A314: 06A6A6FA FF00FFB0
	v_subrev_f32_dpp v84, v176, v84 quad_perm:[0,0,0,0] row_mask:0xf bank_mask:0xf// 00000000A31C: 06A8A8FA FF0000B0
	v_subrev_f32_dpp v85, v176, v85 quad_perm:[1,1,1,1] row_mask:0xf bank_mask:0xf// 00000000A324: 06AAAAFA FF0055B0
	v_subrev_f32_dpp v86, v176, v86 quad_perm:[2,2,2,2] row_mask:0xf bank_mask:0xf// 00000000A32C: 06ACACFA FF00AAB0
	v_subrev_f32_dpp v87, v176, v87 quad_perm:[3,3,3,3] row_mask:0xf bank_mask:0xf// 00000000A334: 06AEAEFA FF00FFB0
	v_mfma_f32_16x16x16_bf16 v[188:191], v[128:129], v[164:165], v[188:191]// 00000000A33C: D3E100BC 06F34980
	v_mul_f32_e32 v76, v52, v76                                // 00000000A344: 0A989934
	v_mul_f32_e32 v77, v53, v77                                // 00000000A348: 0A9A9B35
	v_mul_f32_e32 v78, v54, v78                                // 00000000A34C: 0A9C9D36
	v_mul_f32_e32 v79, v55, v79                                // 00000000A350: 0A9E9F37
	v_mul_f32_e32 v80, v56, v80                                // 00000000A354: 0AA0A138
	v_mul_f32_e32 v81, v57, v81                                // 00000000A358: 0AA2A339
	v_mfma_f32_16x16x16_bf16 v[192:195], v[130:131], v[164:165], v[192:195]// 00000000A35C: D3E100C0 07034982
	v_mul_f32_e32 v82, v58, v82                                // 00000000A364: 0AA4A53A
	v_mul_f32_e32 v83, v59, v83                                // 00000000A368: 0AA6A73B
	v_mul_f32_e32 v84, v60, v84                                // 00000000A36C: 0AA8A93C
	v_mul_f32_e32 v85, v61, v85                                // 00000000A370: 0AAAAB3D
	v_mul_f32_e32 v86, v62, v86                                // 00000000A374: 0AACAD3E
	v_mul_f32_e32 v87, v63, v87                                // 00000000A378: 0AAEAF3F
	v_mfma_f32_16x16x16_bf16 v[196:199], v[124:125], v[166:167], v[196:199]// 00000000A37C: D3E100C4 07134D7C
	v_cmp_u_f32_e64 s[78:79], v76, v76                         // 00000000A384: D048004E 0002994C
	v_add3_u32 v228, v76, v231, 1                              // 00000000A38C: D1FF00E4 0207CF4C
	v_cndmask_b32_e64 v32, v228, v230, s[78:79]                // 00000000A394: D1000020 013BCDE4
	v_cmp_u_f32_e64 s[78:79], v77, v77                         // 00000000A39C: D048004E 00029B4D
	v_add3_u32 v228, v77, v231, 1                              // 00000000A3A4: D1FF00E4 0207CF4D
	v_cndmask_b32_e64 v33, v228, v230, s[78:79]                // 00000000A3AC: D1000021 013BCDE4
	v_perm_b32 v76, v33, v32, s64                              // 00000000A3B4: D1ED004C 01024121
	v_cmp_u_f32_e64 s[78:79], v78, v78                         // 00000000A3BC: D048004E 00029D4E
	v_add3_u32 v228, v78, v231, 1                              // 00000000A3C4: D1FF00E4 0207CF4E
	v_cndmask_b32_e64 v32, v228, v230, s[78:79]                // 00000000A3CC: D1000020 013BCDE4
	v_cmp_u_f32_e64 s[78:79], v79, v79                         // 00000000A3D4: D048004E 00029F4F
	v_add3_u32 v228, v79, v231, 1                              // 00000000A3DC: D1FF00E4 0207CF4F
	v_cndmask_b32_e64 v33, v228, v230, s[78:79]                // 00000000A3E4: D1000021 013BCDE4
	v_perm_b32 v77, v33, v32, s64                              // 00000000A3EC: D1ED004D 01024121
	v_cmp_u_f32_e64 s[78:79], v80, v80                         // 00000000A3F4: D048004E 0002A150
	v_add3_u32 v228, v80, v231, 1                              // 00000000A3FC: D1FF00E4 0207CF50
	v_cndmask_b32_e64 v32, v228, v230, s[78:79]                // 00000000A404: D1000020 013BCDE4
	v_cmp_u_f32_e64 s[78:79], v81, v81                         // 00000000A40C: D048004E 0002A351
	v_add3_u32 v228, v81, v231, 1                              // 00000000A414: D1FF00E4 0207CF51
	v_cndmask_b32_e64 v33, v228, v230, s[78:79]                // 00000000A41C: D1000021 013BCDE4
	v_perm_b32 v78, v33, v32, s64                              // 00000000A424: D1ED004E 01024121
	v_cmp_u_f32_e64 s[78:79], v82, v82                         // 00000000A42C: D048004E 0002A552
	v_add3_u32 v228, v82, v231, 1                              // 00000000A434: D1FF00E4 0207CF52
	v_cndmask_b32_e64 v32, v228, v230, s[78:79]                // 00000000A43C: D1000020 013BCDE4
	v_cmp_u_f32_e64 s[78:79], v83, v83                         // 00000000A444: D048004E 0002A753
	v_add3_u32 v228, v83, v231, 1                              // 00000000A44C: D1FF00E4 0207CF53
	v_cndmask_b32_e64 v33, v228, v230, s[78:79]                // 00000000A454: D1000021 013BCDE4
	v_perm_b32 v79, v33, v32, s64                              // 00000000A45C: D1ED004F 01024121
	v_cmp_u_f32_e64 s[78:79], v84, v84                         // 00000000A464: D048004E 0002A954
	v_add3_u32 v228, v84, v231, 1                              // 00000000A46C: D1FF00E4 0207CF54
	v_cndmask_b32_e64 v32, v228, v230, s[78:79]                // 00000000A474: D1000020 013BCDE4
	v_cmp_u_f32_e64 s[78:79], v85, v85                         // 00000000A47C: D048004E 0002AB55
	v_add3_u32 v228, v85, v231, 1                              // 00000000A484: D1FF00E4 0207CF55
	v_cndmask_b32_e64 v33, v228, v230, s[78:79]                // 00000000A48C: D1000021 013BCDE4
	v_perm_b32 v80, v33, v32, s64                              // 00000000A494: D1ED0050 01024121
	v_cmp_u_f32_e64 s[78:79], v86, v86                         // 00000000A49C: D048004E 0002AD56
	v_add3_u32 v228, v86, v231, 1                              // 00000000A4A4: D1FF00E4 0207CF56
	v_cndmask_b32_e64 v32, v228, v230, s[78:79]                // 00000000A4AC: D1000020 013BCDE4
	v_cmp_u_f32_e64 s[78:79], v87, v87                         // 00000000A4B4: D048004E 0002AF57
	v_add3_u32 v228, v87, v231, 1                              // 00000000A4BC: D1FF00E4 0207CF57
	v_cndmask_b32_e64 v33, v228, v230, s[78:79]                // 00000000A4C4: D1000021 013BCDE4
	v_perm_b32 v81, v33, v32, s64                              // 00000000A4CC: D1ED0051 01024121
	v_mfma_f32_16x16x16_bf16 v[200:203], v[126:127], v[166:167], v[200:203]// 00000000A4D4: D3E100C8 07234D7E
	v_mov_b32_dpp v18, v76 quad_perm:[1,0,3,2] row_mask:0xf bank_mask:0xf// 00000000A4DC: 7E2402FA FF00B14C
	v_perm_b32 v52, v18, v76, v17                              // 00000000A4E4: D1ED0034 04469912
	v_mov_b32_dpp v18, v77 quad_perm:[1,0,3,2] row_mask:0xf bank_mask:0xf// 00000000A4EC: 7E2402FA FF00B14D
	v_perm_b32 v53, v18, v77, v17                              // 00000000A4F4: D1ED0035 04469B12
	v_mov_b32_dpp v18, v78 quad_perm:[1,0,3,2] row_mask:0xf bank_mask:0xf// 00000000A4FC: 7E2402FA FF00B14E
	v_perm_b32 v54, v18, v78, v17                              // 00000000A504: D1ED0036 04469D12
	v_mfma_f32_16x16x16_bf16 v[204:207], v[128:129], v[166:167], v[204:207]// 00000000A50C: D3E100CC 07334D80
	ds_write_b32 v20, v52 offset:17408                         // 00000000A514: D81A4400 00003414
	ds_write_b32 v20, v53 offset:17952                         // 00000000A51C: D81A4620 00003514
	v_mfma_f32_16x16x16_bf16 v[208:211], v[130:131], v[166:167], v[208:211]// 00000000A524: D3E100D0 07434D82
	v_mov_b32_dpp v18, v79 quad_perm:[1,0,3,2] row_mask:0xf bank_mask:0xf// 00000000A52C: 7E2402FA FF00B14F
	v_perm_b32 v55, v18, v79, v17                              // 00000000A534: D1ED0037 04469F12
	v_mov_b32_dpp v18, v80 quad_perm:[1,0,3,2] row_mask:0xf bank_mask:0xf// 00000000A53C: 7E2402FA FF00B150
	v_perm_b32 v56, v18, v80, v17                              // 00000000A544: D1ED0038 0446A112
	v_mov_b32_dpp v18, v81 quad_perm:[1,0,3,2] row_mask:0xf bank_mask:0xf// 00000000A54C: 7E2402FA FF00B151
	v_perm_b32 v57, v18, v81, v17                              // 00000000A554: D1ED0039 0446A312
	v_mfma_f32_16x16x16_bf16 v[212:215], v[124:125], v[168:169], v[212:215]// 00000000A55C: D3E100D4 0753517C
	ds_write_b32 v20, v54 offset:19712                         // 00000000A564: D81A4D00 00003614
	ds_write_b32 v20, v55 offset:20256                         // 00000000A56C: D81A4F20 00003714
	v_mfma_f32_16x16x16_bf16 v[216:219], v[126:127], v[168:169], v[216:219]// 00000000A574: D3E100D8 0763517E
	v_subrev_f32_dpp v88, v177, v88 quad_perm:[0,0,0,0] row_mask:0xf bank_mask:0xf// 00000000A57C: 06B0B0FA FF0000B1
	v_subrev_f32_dpp v89, v177, v89 quad_perm:[1,1,1,1] row_mask:0xf bank_mask:0xf// 00000000A584: 06B2B2FA FF0055B1
	v_subrev_f32_dpp v90, v177, v90 quad_perm:[2,2,2,2] row_mask:0xf bank_mask:0xf// 00000000A58C: 06B4B4FA FF00AAB1
	v_subrev_f32_dpp v91, v177, v91 quad_perm:[3,3,3,3] row_mask:0xf bank_mask:0xf// 00000000A594: 06B6B6FA FF00FFB1
	v_subrev_f32_dpp v92, v177, v92 quad_perm:[0,0,0,0] row_mask:0xf bank_mask:0xf// 00000000A59C: 06B8B8FA FF0000B1
	v_subrev_f32_dpp v93, v177, v93 quad_perm:[1,1,1,1] row_mask:0xf bank_mask:0xf// 00000000A5A4: 06BABAFA FF0055B1
	v_mfma_f32_16x16x16_bf16 v[220:223], v[128:129], v[168:169], v[220:223]// 00000000A5AC: D3E100DC 07735180
	ds_write_b32 v20, v56 offset:22016                         // 00000000A5B4: D81A5600 00003814
	ds_write_b32 v20, v57 offset:22560                         // 00000000A5BC: D81A5820 00003914
	v_mfma_f32_16x16x16_bf16 v[224:227], v[130:131], v[168:169], v[224:227]// 00000000A5C4: D3E100E0 07835182
	v_subrev_f32_dpp v94, v177, v94 quad_perm:[2,2,2,2] row_mask:0xf bank_mask:0xf// 00000000A5CC: 06BCBCFA FF00AAB1
	v_subrev_f32_dpp v95, v177, v95 quad_perm:[3,3,3,3] row_mask:0xf bank_mask:0xf// 00000000A5D4: 06BEBEFA FF00FFB1
	v_subrev_f32_dpp v96, v177, v96 quad_perm:[0,0,0,0] row_mask:0xf bank_mask:0xf// 00000000A5DC: 06C0C0FA FF0000B1
	v_subrev_f32_dpp v97, v177, v97 quad_perm:[1,1,1,1] row_mask:0xf bank_mask:0xf// 00000000A5E4: 06C2C2FA FF0055B1
	v_subrev_f32_dpp v98, v177, v98 quad_perm:[2,2,2,2] row_mask:0xf bank_mask:0xf// 00000000A5EC: 06C4C4FA FF00AAB1
	v_subrev_f32_dpp v99, v177, v99 quad_perm:[3,3,3,3] row_mask:0xf bank_mask:0xf// 00000000A5F4: 06C6C6FA FF00FFB1
	v_mfma_f32_16x16x16_bf16 v[180:183], v[132:133], v[170:171], v[180:183]// 00000000A5FC: D3E100B4 06D35584
	v_mul_f32_e32 v88, v64, v88                                // 00000000A604: 0AB0B140
	v_mul_f32_e32 v89, v65, v89                                // 00000000A608: 0AB2B341
	v_mul_f32_e32 v90, v66, v90                                // 00000000A60C: 0AB4B542
	v_mul_f32_e32 v91, v67, v91                                // 00000000A610: 0AB6B743
	v_mul_f32_e32 v92, v68, v92                                // 00000000A614: 0AB8B944
	v_mul_f32_e32 v93, v69, v93                                // 00000000A618: 0ABABB45
	v_mfma_f32_16x16x16_bf16 v[184:187], v[134:135], v[170:171], v[184:187]// 00000000A61C: D3E100B8 06E35586
	v_mul_f32_e32 v94, v70, v94                                // 00000000A624: 0ABCBD46
	v_mul_f32_e32 v95, v71, v95                                // 00000000A628: 0ABEBF47
	v_mul_f32_e32 v96, v72, v96                                // 00000000A62C: 0AC0C148
	v_mul_f32_e32 v97, v73, v97                                // 00000000A630: 0AC2C349
	v_mul_f32_e32 v98, v74, v98                                // 00000000A634: 0AC4C54A
	v_mul_f32_e32 v99, v75, v99                                // 00000000A638: 0AC6C74B
	v_mfma_f32_16x16x16_bf16 v[188:191], v[136:137], v[170:171], v[188:191]// 00000000A63C: D3E100BC 06F35588
	v_cmp_u_f32_e64 s[78:79], v88, v88                         // 00000000A644: D048004E 0002B158
	v_add3_u32 v228, v88, v231, 1                              // 00000000A64C: D1FF00E4 0207CF58
	v_cndmask_b32_e64 v32, v228, v230, s[78:79]                // 00000000A654: D1000020 013BCDE4
	v_cmp_u_f32_e64 s[78:79], v89, v89                         // 00000000A65C: D048004E 0002B359
	v_add3_u32 v228, v89, v231, 1                              // 00000000A664: D1FF00E4 0207CF59
	v_cndmask_b32_e64 v33, v228, v230, s[78:79]                // 00000000A66C: D1000021 013BCDE4
	v_perm_b32 v82, v33, v32, s64                              // 00000000A674: D1ED0052 01024121
	v_cmp_u_f32_e64 s[78:79], v90, v90                         // 00000000A67C: D048004E 0002B55A
	v_add3_u32 v228, v90, v231, 1                              // 00000000A684: D1FF00E4 0207CF5A
	v_cndmask_b32_e64 v32, v228, v230, s[78:79]                // 00000000A68C: D1000020 013BCDE4
	v_cmp_u_f32_e64 s[78:79], v91, v91                         // 00000000A694: D048004E 0002B75B
	v_add3_u32 v228, v91, v231, 1                              // 00000000A69C: D1FF00E4 0207CF5B
	v_cndmask_b32_e64 v33, v228, v230, s[78:79]                // 00000000A6A4: D1000021 013BCDE4
	v_perm_b32 v83, v33, v32, s64                              // 00000000A6AC: D1ED0053 01024121
	v_cmp_u_f32_e64 s[78:79], v92, v92                         // 00000000A6B4: D048004E 0002B95C
	v_add3_u32 v228, v92, v231, 1                              // 00000000A6BC: D1FF00E4 0207CF5C
	v_cndmask_b32_e64 v32, v228, v230, s[78:79]                // 00000000A6C4: D1000020 013BCDE4
	v_cmp_u_f32_e64 s[78:79], v93, v93                         // 00000000A6CC: D048004E 0002BB5D
	v_add3_u32 v228, v93, v231, 1                              // 00000000A6D4: D1FF00E4 0207CF5D
	v_cndmask_b32_e64 v33, v228, v230, s[78:79]                // 00000000A6DC: D1000021 013BCDE4
	v_perm_b32 v84, v33, v32, s64                              // 00000000A6E4: D1ED0054 01024121
	v_cmp_u_f32_e64 s[78:79], v94, v94                         // 00000000A6EC: D048004E 0002BD5E
	v_add3_u32 v228, v94, v231, 1                              // 00000000A6F4: D1FF00E4 0207CF5E
	v_cndmask_b32_e64 v32, v228, v230, s[78:79]                // 00000000A6FC: D1000020 013BCDE4
	v_cmp_u_f32_e64 s[78:79], v95, v95                         // 00000000A704: D048004E 0002BF5F
	v_add3_u32 v228, v95, v231, 1                              // 00000000A70C: D1FF00E4 0207CF5F
	v_cndmask_b32_e64 v33, v228, v230, s[78:79]                // 00000000A714: D1000021 013BCDE4
	v_perm_b32 v85, v33, v32, s64                              // 00000000A71C: D1ED0055 01024121
	v_cmp_u_f32_e64 s[78:79], v96, v96                         // 00000000A724: D048004E 0002C160
	v_add3_u32 v228, v96, v231, 1                              // 00000000A72C: D1FF00E4 0207CF60
	v_cndmask_b32_e64 v32, v228, v230, s[78:79]                // 00000000A734: D1000020 013BCDE4
	v_cmp_u_f32_e64 s[78:79], v97, v97                         // 00000000A73C: D048004E 0002C361
	v_add3_u32 v228, v97, v231, 1                              // 00000000A744: D1FF00E4 0207CF61
	v_cndmask_b32_e64 v33, v228, v230, s[78:79]                // 00000000A74C: D1000021 013BCDE4
	v_perm_b32 v86, v33, v32, s64                              // 00000000A754: D1ED0056 01024121
	v_cmp_u_f32_e64 s[78:79], v98, v98                         // 00000000A75C: D048004E 0002C562
	v_add3_u32 v228, v98, v231, 1                              // 00000000A764: D1FF00E4 0207CF62
	v_cndmask_b32_e64 v32, v228, v230, s[78:79]                // 00000000A76C: D1000020 013BCDE4
	v_cmp_u_f32_e64 s[78:79], v99, v99                         // 00000000A774: D048004E 0002C763
	v_add3_u32 v228, v99, v231, 1                              // 00000000A77C: D1FF00E4 0207CF63
	v_cndmask_b32_e64 v33, v228, v230, s[78:79]                // 00000000A784: D1000021 013BCDE4
	v_perm_b32 v87, v33, v32, s64                              // 00000000A78C: D1ED0057 01024121
	v_mfma_f32_16x16x16_bf16 v[192:195], v[138:139], v[170:171], v[192:195]// 00000000A794: D3E100C0 0703558A
	v_mov_b32_dpp v18, v82 quad_perm:[1,0,3,2] row_mask:0xf bank_mask:0xf// 00000000A79C: 7E2402FA FF00B152
	v_perm_b32 v58, v18, v82, v17                              // 00000000A7A4: D1ED003A 0446A512
	v_mov_b32_dpp v18, v83 quad_perm:[1,0,3,2] row_mask:0xf bank_mask:0xf// 00000000A7AC: 7E2402FA FF00B153
	v_perm_b32 v59, v18, v83, v17                              // 00000000A7B4: D1ED003B 0446A712
	v_mov_b32_dpp v18, v84 quad_perm:[1,0,3,2] row_mask:0xf bank_mask:0xf// 00000000A7BC: 7E2402FA FF00B154
	v_perm_b32 v60, v18, v84, v17                              // 00000000A7C4: D1ED003C 0446A912
	v_mfma_f32_16x16x16_bf16 v[196:199], v[132:133], v[172:173], v[196:199]// 00000000A7CC: D3E100C4 07135984
	ds_write_b32 v20, v58 offset:24320                         // 00000000A7D4: D81A5F00 00003A14
	ds_write_b32 v20, v59 offset:24864                         // 00000000A7DC: D81A6120 00003B14
	v_mfma_f32_16x16x16_bf16 v[200:203], v[134:135], v[172:173], v[200:203]// 00000000A7E4: D3E100C8 07235986
	v_mov_b32_dpp v18, v85 quad_perm:[1,0,3,2] row_mask:0xf bank_mask:0xf// 00000000A7EC: 7E2402FA FF00B155
	v_perm_b32 v61, v18, v85, v17                              // 00000000A7F4: D1ED003D 0446AB12
	v_mov_b32_dpp v18, v86 quad_perm:[1,0,3,2] row_mask:0xf bank_mask:0xf// 00000000A7FC: 7E2402FA FF00B156
	v_perm_b32 v62, v18, v86, v17                              // 00000000A804: D1ED003E 0446AD12
	v_mov_b32_dpp v18, v87 quad_perm:[1,0,3,2] row_mask:0xf bank_mask:0xf// 00000000A80C: 7E2402FA FF00B157
	v_perm_b32 v63, v18, v87, v17                              // 00000000A814: D1ED003F 0446AF12
	v_mfma_f32_16x16x16_bf16 v[204:207], v[136:137], v[172:173], v[204:207]// 00000000A81C: D3E100CC 07335988
	ds_write_b32 v20, v60 offset:26624                         // 00000000A824: D81A6800 00003C14
	ds_write_b32 v20, v61 offset:27168                         // 00000000A82C: D81A6A20 00003D14
	ds_write_b32 v20, v62 offset:28928                         // 00000000A834: D81A7100 00003E14
	ds_write_b32 v20, v63 offset:29472                         // 00000000A83C: D81A7320 00003F14
	v_mfma_f32_16x16x16_bf16 v[208:211], v[138:139], v[172:173], v[208:211]// 00000000A844: D3E100D0 0743598A
	v_mfma_f32_16x16x16_bf16 v[212:215], v[132:133], v[174:175], v[212:215]// 00000000A84C: D3E100D4 07535D84
	ds_write_b32 v15, v100 offset:4352                         // 00000000A854: D81A1100 0000640F
	ds_write_b32 v15, v101 offset:5408                         // 00000000A85C: D81A1520 0000650F
	v_mfma_f32_16x16x16_bf16 v[216:219], v[134:135], v[174:175], v[216:219]// 00000000A864: D3E100D8 07635D86
	v_mfma_f32_16x16x16_bf16 v[220:223], v[136:137], v[174:175], v[220:223]// 00000000A86C: D3E100DC 07735D88
	ds_write_b32 v15, v102 offset:6528                         // 00000000A874: D81A1980 0000660F
	ds_write_b32 v15, v103 offset:7584                         // 00000000A87C: D81A1DA0 0000670F
	v_mfma_f32_16x16x16_bf16 v[224:227], v[138:139], v[174:175], v[224:227]// 00000000A884: D3E100E0 07835D8A
	s_nop 0                                                    // 00000000A88C: BF800000
	s_nop 0                                                    // 00000000A890: BF800000
	s_nop 0                                                    // 00000000A894: BF800000
	s_barrier                                                  // 00000000A898: BF8A0000
	v_mfma_f32_16x16x16_bf16 a[112:115], a[96:97], v[76:77], a[112:115]// 00000000A89C: D3E18070 0DC29960
	ds_read_b32 v140, v23 offset:39424                         // 00000000A8A4: D86C9A00 8C000017
	ds_read_b32 v144, v23 offset:39488                         // 00000000A8AC: D86C9A40 90000017
	ds_read_b32 v176, v23 offset:39680                         // 00000000A8B4: D86C9B00 B0000017
	ds_read_b32 v177, v23 offset:39744                         // 00000000A8BC: D86C9B40 B1000017
	v_mfma_f32_16x16x16_bf16 a[116:119], a[98:99], v[76:77], a[116:119]// 00000000A8C4: D3E18074 0DD29962
	buffer_atomic_add_f32 v156, v6, s[32:35], 0 idxen          // 00000000A8CC: E1342000 80089C06
	v_mfma_f32_16x16x16_bf16 a[120:123], a[100:101], v[76:77], a[120:123]// 00000000A8D4: D3E18078 0DE29964
	s_waitcnt lgkmcnt(8)                                       // 00000000A8DC: BF8CC87F
	s_barrier                                                  // 00000000A8E0: BF8A0000
	v_mfma_f32_16x16x16_bf16 a[124:127], a[102:103], v[76:77], a[124:127]// 00000000A8E4: D3E1807C 0DF29966
	v_mfma_f32_16x16x16_bf16 a[128:131], a[96:97], v[78:79], a[128:131]// 00000000A8EC: D3E18080 0E029D60
	ds_read_b128 v[52:55], v19 offset:17408                    // 00000000A8F4: D9FE4400 34000013
	v_mfma_f32_16x16x16_bf16 a[132:135], a[98:99], v[78:79], a[132:135]// 00000000A8FC: D3E18084 0E129D62
	v_mfma_f32_16x16x16_bf16 a[136:139], a[100:101], v[78:79], a[136:139]// 00000000A904: D3E18088 0E229D64
	ds_read_b128 v[56:59], v19 offset:18560                    // 00000000A90C: D9FE4880 38000013
	v_mfma_f32_16x16x16_bf16 a[140:143], a[102:103], v[78:79], a[140:143]// 00000000A914: D3E1808C 0E329D66
	buffer_atomic_add_f32 v157, v7, s[32:35], 0 idxen          // 00000000A91C: E1342000 80089D07
	v_mfma_f32_16x16x16_bf16 a[144:147], a[96:97], v[80:81], a[144:147]// 00000000A924: D3E18090 0E42A160
	ds_read_b128 v[60:63], v19 offset:19712                    // 00000000A92C: D9FE4D00 3C000013
	v_mfma_f32_16x16x16_bf16 a[148:151], a[98:99], v[80:81], a[148:151]// 00000000A934: D3E18094 0E52A162
	v_mfma_f32_16x16x16_bf16 a[152:155], a[100:101], v[80:81], a[152:155]// 00000000A93C: D3E18098 0E62A164
	ds_read_b128 v[64:67], v19 offset:20864                    // 00000000A944: D9FE5180 40000013
	v_mfma_f32_16x16x16_bf16 a[156:159], a[102:103], v[80:81], a[156:159]// 00000000A94C: D3E1809C 0E72A166
	v_mfma_f32_16x16x16_bf16 a[112:115], a[104:105], v[82:83], a[112:115]// 00000000A954: D3E18070 0DC2A568
	ds_read_b128 v[68:71], v19 offset:22016                    // 00000000A95C: D9FE5600 44000013
	v_mfma_f32_16x16x16_bf16 a[116:119], a[106:107], v[82:83], a[116:119]// 00000000A964: D3E18074 0DD2A56A
	buffer_atomic_add_f32 v158, v6, s[32:35], 0 idxen offset:128// 00000000A96C: E1342080 80089E06
	v_mfma_f32_16x16x16_bf16 a[120:123], a[108:109], v[82:83], a[120:123]// 00000000A974: D3E18078 0DE2A56C
	ds_read_b128 v[72:75], v19 offset:23168                    // 00000000A97C: D9FE5A80 48000013
	v_mfma_f32_16x16x16_bf16 a[124:127], a[110:111], v[82:83], a[124:127]// 00000000A984: D3E1807C 0DF2A56E
	v_mfma_f32_16x16x16_bf16 a[128:131], a[104:105], v[84:85], a[128:131]// 00000000A98C: D3E18080 0E02A968
	ds_write_b32 v15, v104 offset:13056                        // 00000000A994: D81A3300 0000680F
	v_mfma_f32_16x16x16_bf16 a[132:135], a[106:107], v[84:85], a[132:135]// 00000000A99C: D3E18084 0E12A96A
	v_mfma_f32_16x16x16_bf16 a[136:139], a[108:109], v[84:85], a[136:139]// 00000000A9A4: D3E18088 0E22A96C
	ds_write_b32 v15, v105 offset:14112                        // 00000000A9AC: D81A3720 0000690F
	v_mfma_f32_16x16x16_bf16 a[140:143], a[110:111], v[84:85], a[140:143]// 00000000A9B4: D3E1808C 0E32A96E
	buffer_atomic_add_f32 v159, v7, s[32:35], 0 idxen offset:128// 00000000A9BC: E1342080 80089F07
	v_mfma_f32_16x16x16_bf16 a[144:147], a[104:105], v[86:87], a[144:147]// 00000000A9C4: D3E18090 0E42AD68
	ds_write_b32 v15, v106 offset:15232                        // 00000000A9CC: D81A3B80 00006A0F
	v_mfma_f32_16x16x16_bf16 a[148:151], a[106:107], v[86:87], a[148:151]// 00000000A9D4: D3E18094 0E52AD6A
	v_mfma_f32_16x16x16_bf16 a[152:155], a[108:109], v[86:87], a[152:155]// 00000000A9DC: D3E18098 0E62AD6C
	ds_write_b32 v15, v107 offset:16288                        // 00000000A9E4: D81A3FA0 00006B0F
	v_mfma_f32_16x16x16_bf16 a[156:159], a[110:111], v[86:87], a[156:159]// 00000000A9EC: D3E1809C 0E72AD6E
	s_waitcnt vmcnt(8) lgkmcnt(4)                              // 00000000A9F4: BF8C0478
	s_barrier                                                  // 00000000A9F8: BF8A0000
	v_mfma_f32_16x16x16_bf16 v[148:151], v[52:53], a[24:25], 0 // 00000000A9FC: D3E10094 12023134
	ds_read_b128 a[96:99], v12                                 // 00000000AA04: DBFE0000 6000000C
	buffer_load_dword v36, v1, s[8:11], 0 idxen                // 00000000AA0C: E0502000 80022401
	v_mfma_f32_16x16x16_bf16 v[148:151], v[54:55], a[28:29], v[148:151]// 00000000AA14: D3E10094 16523936
	v_mul_f32_e32 v140, s48, v140                              // 00000000AA1C: 0B191830
	v_mul_f32_e32 v144, s48, v144                              // 00000000AA20: 0B212030
	s_nop 0                                                    // 00000000AA24: BF800000
	v_mfma_f32_16x16x16_bf16 v[148:151], v[56:57], a[32:33], v[148:151]// 00000000AA28: D3E10094 16524138
	ds_read_b128 a[100:103], v12 offset:512                    // 00000000AA30: DBFE0200 6400000C
	buffer_load_dword v37, v2, s[8:11], 0 idxen                // 00000000AA38: E0502000 80022502
	v_mfma_f32_16x16x16_bf16 v[148:151], v[58:59], a[36:37], v[148:151]// 00000000AA40: D3E10094 1652493A
	v_mfma_f32_16x16x16_bf16 v[148:151], v[60:61], a[40:41], v[148:151]// 00000000AA48: D3E10094 1652513C
	ds_read_b128 a[104:107], v12 offset:2176                   // 00000000AA50: DBFE0880 6800000C
	buffer_load_dword v38, v3, s[8:11], 0 idxen                // 00000000AA58: E0502000 80022603
	v_mfma_f32_16x16x16_bf16 v[148:151], v[62:63], a[44:45], v[148:151]// 00000000AA60: D3E10094 1652593E
	v_perm_b32 v100, v41, v40, s63                             // 00000000AA68: D1ED0064 00FE5129
	v_perm_b32 v101, v41, v40, s64                             // 00000000AA70: D1ED0065 01025129
	v_mfma_f32_16x16x16_bf16 v[148:151], v[64:65], a[48:49], v[148:151]// 00000000AA78: D3E10094 16526140
	ds_read_b128 a[108:111], v12 offset:2688                   // 00000000AA80: DBFE0A80 6C00000C
	buffer_load_dword v39, v4, s[8:11], 0 idxen                // 00000000AA88: E0502000 80022704
	v_mfma_f32_16x16x16_bf16 v[148:151], v[66:67], a[52:53], v[148:151]// 00000000AA90: D3E10094 16526942
	v_perm_b32 v102, v43, v42, s63                             // 00000000AA98: D1ED0066 00FE552B
	v_perm_b32 v103, v43, v42, s64                             // 00000000AAA0: D1ED0067 0102552B
	v_mfma_f32_16x16x16_bf16 v[148:151], v[68:69], a[56:57], v[148:151]// 00000000AAA8: D3E10094 16527144
	ds_read_b128 v[108:111], v12 offset:8704                   // 00000000AAB0: D9FE2200 6C00000C
	buffer_load_dword v44, v232, s[20:23], 0 idxen             // 00000000AAB8: E0502000 80052CE8
	v_mfma_f32_16x16x16_bf16 v[148:151], v[70:71], a[60:61], v[148:151]// 00000000AAC0: D3E10094 16527946
	v_perm_b32 v104, v49, v48, s63                             // 00000000AAC8: D1ED0068 00FE6131
	v_perm_b32 v105, v49, v48, s64                             // 00000000AAD0: D1ED0069 01026131
	v_mfma_f32_16x16x16_bf16 v[148:151], v[72:73], a[64:65], v[148:151]// 00000000AAD8: D3E10094 16528148
	ds_read_b128 v[112:115], v12 offset:9216                   // 00000000AAE0: D9FE2400 7000000C
	buffer_load_dword v45, v233, s[20:23], 0 idxen             // 00000000AAE8: E0502000 80052DE9
	v_mfma_f32_16x16x16_bf16 v[148:151], v[74:75], a[68:69], v[148:151]// 00000000AAF0: D3E10094 1652894A
	v_perm_b32 v106, v51, v50, s63                             // 00000000AAF8: D1ED006A 00FE6533
	v_perm_b32 v107, v51, v50, s64                             // 00000000AB00: D1ED006B 01026533
	v_mfma_f32_16x16x16_bf16 v[152:155], v[52:53], a[26:27], 0 // 00000000AB08: D3E10098 12023534
	ds_read_b128 v[116:119], v12 offset:10880                  // 00000000AB10: D9FE2A80 7400000C
	buffer_load_dword v46, v234, s[20:23], 0 idxen             // 00000000AB18: E0502000 80052EEA
	v_mfma_f32_16x16x16_bf16 v[152:155], v[54:55], a[30:31], v[152:155]// 00000000AB20: D3E10098 16623D36
	v_mov_b32_dpp v143, v140 quad_perm:[3,3,3,3] row_mask:0xf bank_mask:0xf// 00000000AB28: 7F1E02FA FF00FF8C
	v_mov_b32_dpp v142, v140 quad_perm:[2,2,2,2] row_mask:0xf bank_mask:0xf// 00000000AB30: 7F1C02FA FF00AA8C
	v_mov_b32_dpp v141, v140 quad_perm:[1,1,1,1] row_mask:0xf bank_mask:0xf// 00000000AB38: 7F1A02FA FF00558C
	v_mov_b32_dpp v140, v140 quad_perm:[0,0,0,0] row_mask:0xf bank_mask:0xf// 00000000AB40: 7F1802FA FF00008C
	v_mfma_f32_16x16x16_bf16 v[152:155], v[56:57], a[34:35], v[152:155]// 00000000AB48: D3E10098 16624538
	ds_read_b128 v[120:123], v12 offset:11392                  // 00000000AB50: D9FE2C80 7800000C
	buffer_load_dword v47, v235, s[20:23], 0 idxen             // 00000000AB58: E0502000 80052FEB
	v_mfma_f32_16x16x16_bf16 v[152:155], v[58:59], a[38:39], v[152:155]// 00000000AB60: D3E10098 16624D3A
	v_mov_b32_dpp v147, v144 quad_perm:[3,3,3,3] row_mask:0xf bank_mask:0xf// 00000000AB68: 7F2602FA FF00FF90
	v_mov_b32_dpp v146, v144 quad_perm:[2,2,2,2] row_mask:0xf bank_mask:0xf// 00000000AB70: 7F2402FA FF00AA90
	v_mov_b32_dpp v145, v144 quad_perm:[1,1,1,1] row_mask:0xf bank_mask:0xf// 00000000AB78: 7F2202FA FF005590
	v_mov_b32_dpp v144, v144 quad_perm:[0,0,0,0] row_mask:0xf bank_mask:0xf// 00000000AB80: 7F2002FA FF000090
	s_add_u32 s60, 0x80, s59                                   // 00000000AB88: 803C3BFF 00000080
	v_mfma_f32_16x16x16_bf16 v[152:155], v[60:61], a[42:43], v[152:155]// 00000000AB90: D3E10098 1662553C
	buffer_load_dword v11, s[24:27], 0 idxen lds               // 00000000AB98: E0512000 8006000B
	v_mfma_f32_16x16x16_bf16 v[152:155], v[62:63], a[46:47], v[152:155]// 00000000ABA0: D3E10098 16625D3E
	s_cmp_lt_u32 s60, s58                                      // 00000000ABA8: BF0A3A3C
	s_cselect_b32 s68, s68, 0                                  // 00000000ABAC: 85448044
	s_cselect_b32 s100, s100, 0                                // 00000000ABB0: 85648064
	s_cselect_b32 s69, s69, 0                                  // 00000000ABB4: 85458045
	v_mfma_f32_16x16x16_bf16 v[152:155], v[64:65], a[50:51], v[152:155]// 00000000ABB8: D3E10098 16626540
	v_add_u32_e32 v1, s68, v1                                  // 00000000ABC0: 68020244
	v_add_u32_e32 v2, s68, v2                                  // 00000000ABC4: 68040444
	v_add_u32_e32 v3, s68, v3                                  // 00000000ABC8: 68060644
	v_add_u32_e32 v4, s68, v4                                  // 00000000ABCC: 68080844
	v_mfma_f32_16x16x16_bf16 v[152:155], v[66:67], a[54:55], v[152:155]// 00000000ABD0: D3E10098 16626D42
	v_add_u32_e32 v232, s100, v232                             // 00000000ABD8: 69D1D064
	v_add_u32_e32 v233, s100, v233                             // 00000000ABDC: 69D3D264
	v_add_u32_e32 v234, s100, v234                             // 00000000ABE0: 69D5D464
	v_add_u32_e32 v235, s100, v235                             // 00000000ABE4: 69D7D664
	v_mfma_f32_16x16x16_bf16 v[152:155], v[68:69], a[58:59], v[152:155]// 00000000ABE8: D3E10098 16627544
	s_mov_b32 m0, s81                                          // 00000000ABF0: BEFC0051
	v_add_u32_e32 v11, s69, v11                                // 00000000ABF4: 68161645
	v_mfma_f32_16x16x16_bf16 v[152:155], v[70:71], a[62:63], v[152:155]// 00000000ABF8: D3E10098 16627D46
	s_cmp_ge_u32 s59, s73                                      // 00000000AC00: BF09493B
	s_cselect_b32 s66, s67, s66                                // 00000000AC04: 85424243
	v_mfma_f32_16x16x16_bf16 v[152:155], v[72:73], a[66:67], v[152:155]// 00000000AC08: D3E10098 16628548
	s_addk_i32 s59, 0x20                                       // 00000000AC10: B73B0020
	s_nop 0                                                    // 00000000AC14: BF800000
	s_cmp_lt_i32 s59, s58                                      // 00000000AC18: BF043A3B
	v_mfma_f32_16x16x16_bf16 v[152:155], v[74:75], a[70:71], v[152:155]// 00000000AC1C: D3E10098 16628D4A
	s_cbranch_scc0 label_1105                                  // 00000000AC24: BF84F569
	s_branch label_1108                                        // 00000000AC28: BF82F56B

000000000000ac2c <label_1BAF>:
	buffer_atomic_add_f32 v160, v8, s[32:35], 0 idxen          // 00000000AC2C: E1342000 8008A008
	buffer_atomic_add_f32 v161, v9, s[32:35], 0 idxen          // 00000000AC34: E1342000 8008A109
	buffer_atomic_add_f32 v162, v8, s[32:35], 0 idxen offset:128// 00000000AC3C: E1342080 8008A208
	buffer_atomic_add_f32 v163, v9, s[32:35], 0 idxen offset:128// 00000000AC44: E1342080 8008A309
	v_add_u32_e32 v6, s66, v6                                  // 00000000AC4C: 680C0C42
	v_add_u32_e32 v7, s66, v7                                  // 00000000AC50: 680E0E42
	v_add_u32_e32 v8, s66, v8                                  // 00000000AC54: 68101042
	v_add_u32_e32 v9, s66, v9                                  // 00000000AC58: 68121242
	v_lshrrev_b32_e32 v32, 5, v0                               // 00000000AC5C: 20400085
	v_mul_i32_i24_e32 v27, 0x44, v32                           // 00000000AC60: 0C3640FF 00000044
	v_and_b32_e32 v32, 31, v0                                  // 00000000AC68: 2640009F
	v_mul_i32_i24_e32 v33, 2, v32                              // 00000000AC6C: 0C424082
	v_add_u32_e32 v27, v33, v27                                // 00000000AC70: 68363721
	s_mul_i32 s60, s46, 0x220                                  // 00000000AC74: 923CFF2E 00000220
	v_add_u32_e32 v27, s60, v27                                // 00000000AC7C: 6836363C
	v_lshlrev_b32_e32 v27, 2, v27                              // 00000000AC80: 24363682
	v_mul_f32_e32 v148, s47, v148                              // 00000000AC84: 0B29282F
	v_mul_f32_e32 v149, s47, v149                              // 00000000AC88: 0B2B2A2F
	v_mul_f32_e32 v150, s47, v150                              // 00000000AC8C: 0B2D2C2F
	v_mul_f32_e32 v151, s47, v151                              // 00000000AC90: 0B2F2E2F
	v_mul_f32_e32 v152, s47, v152                              // 00000000AC94: 0B31302F
	v_mul_f32_e32 v153, s47, v153                              // 00000000AC98: 0B33322F
	v_mul_f32_e32 v154, s47, v154                              // 00000000AC9C: 0B35342F
	v_mul_f32_e32 v155, s47, v155                              // 00000000ACA0: 0B37362F
	ds_write_b64 v22, v[148:149] offset:31232                  // 00000000ACA4: D89A7A00 00009416
	ds_write_b64 v22, v[150:151] offset:31744                  // 00000000ACAC: D89A7C00 00009616
	ds_write_b64 v22, v[152:153] offset:32256                  // 00000000ACB4: D89A7E00 00009816
	ds_write_b64 v22, v[154:155] offset:32768                  // 00000000ACBC: D89A8000 00009A16
	s_waitcnt lgkmcnt(0)                                       // 00000000ACC4: BF8CC07F
	s_barrier                                                  // 00000000ACC8: BF8A0000
	ds_read_b64 v[156:157], v21 offset:31232                   // 00000000ACCC: D8EC7A00 9C000015
	ds_read_b64 v[158:159], v21 offset:33280                   // 00000000ACD4: D8EC8200 9E000015
	ds_read_b64 v[160:161], v21 offset:35328                   // 00000000ACDC: D8EC8A00 A0000015
	ds_read_b64 v[162:163], v21 offset:37376                   // 00000000ACE4: D8EC9200 A2000015
	s_waitcnt lgkmcnt(0)                                       // 00000000ACEC: BF8CC07F
	s_barrier                                                  // 00000000ACF0: BF8A0000
	buffer_atomic_add_f32 v156, v6, s[32:35], 0 idxen          // 00000000ACF4: E1342000 80089C06
	buffer_atomic_add_f32 v157, v7, s[32:35], 0 idxen          // 00000000ACFC: E1342000 80089D07
	buffer_atomic_add_f32 v158, v6, s[32:35], 0 idxen offset:128// 00000000AD04: E1342080 80089E06
	buffer_atomic_add_f32 v159, v7, s[32:35], 0 idxen offset:128// 00000000AD0C: E1342080 80089F07
	buffer_atomic_add_f32 v160, v8, s[32:35], 0 idxen          // 00000000AD14: E1342000 8008A008
	buffer_atomic_add_f32 v161, v9, s[32:35], 0 idxen          // 00000000AD1C: E1342000 8008A109
	buffer_atomic_add_f32 v162, v8, s[32:35], 0 idxen offset:128// 00000000AD24: E1342080 8008A208
	buffer_atomic_add_f32 v163, v9, s[32:35], 0 idxen offset:128// 00000000AD2C: E1342080 8008A309
	v_lshrrev_b32_e32 v32, 3, v0                               // 00000000AD34: 20400083
	v_mul_i32_i24_e32 v26, 2, v32                              // 00000000AD38: 0C344082
	v_and_b32_e32 v32, 7, v0                                   // 00000000AD3C: 26400087
	v_mul_i32_i24_e32 v33, 0x44, v32                           // 00000000AD40: 0C4240FF 00000044
	v_add_u32_e32 v26, v33, v26                                // 00000000AD48: 68343521
	s_mul_i32 s60, s46, 0x220                                  // 00000000AD4C: 923CFF2E 00000220
	v_add_u32_e32 v26, s60, v26                                // 00000000AD54: 6834343C
	v_lshlrev_b32_e32 v26, 2, v26                              // 00000000AD58: 24343482
	v_accvgpr_read_b32 v34, a112                               // 00000000AD5C: D3D84022 18000170
	v_accvgpr_read_b32 v35, a113                               // 00000000AD64: D3D84023 18000171
	v_mul_f32_e32 v34, s47, v34                                // 00000000AD6C: 0A44442F
	v_mul_f32_e32 v35, s47, v35                                // 00000000AD70: 0A46462F
	v_cmp_u_f32_e64 s[78:79], v34, v34                         // 00000000AD74: D048004E 00024522
	v_bfe_u32 v228, v34, 16, 1                                 // 00000000AD7C: D1C800E4 02052122
	v_add3_u32 v228, v34, v228, v231                           // 00000000AD84: D1FF00E4 079FC922
	v_cndmask_b32_e64 v32, v228, v230, s[78:79]                // 00000000AD8C: D1000020 013BCDE4
	v_lshrrev_b32_e32 v32, 16, v32                             // 00000000AD94: 20404090
	v_cmp_u_f32_e64 s[78:79], v35, v35                         // 00000000AD98: D048004E 00024723
	v_bfe_u32 v228, v35, 16, 1                                 // 00000000ADA0: D1C800E4 02052123
	v_add3_u32 v228, v35, v228, v231                           // 00000000ADA8: D1FF00E4 079FC923
	v_cndmask_b32_e64 v33, v228, v230, s[78:79]                // 00000000ADB0: D1000021 013BCDE4
	v_and_or_b32 v52, v33, v229, v32                           // 00000000ADB8: D2010034 0483CB21
	v_accvgpr_read_b32 v34, a114                               // 00000000ADC0: D3D84022 18000172
	v_accvgpr_read_b32 v35, a115                               // 00000000ADC8: D3D84023 18000173
	v_mul_f32_e32 v34, s47, v34                                // 00000000ADD0: 0A44442F
	v_mul_f32_e32 v35, s47, v35                                // 00000000ADD4: 0A46462F
	v_cmp_u_f32_e64 s[78:79], v34, v34                         // 00000000ADD8: D048004E 00024522
	v_bfe_u32 v228, v34, 16, 1                                 // 00000000ADE0: D1C800E4 02052122
	v_add3_u32 v228, v34, v228, v231                           // 00000000ADE8: D1FF00E4 079FC922
	v_cndmask_b32_e64 v32, v228, v230, s[78:79]                // 00000000ADF0: D1000020 013BCDE4
	v_lshrrev_b32_e32 v32, 16, v32                             // 00000000ADF8: 20404090
	v_cmp_u_f32_e64 s[78:79], v35, v35                         // 00000000ADFC: D048004E 00024723
	v_bfe_u32 v228, v35, 16, 1                                 // 00000000AE04: D1C800E4 02052123
	v_add3_u32 v228, v35, v228, v231                           // 00000000AE0C: D1FF00E4 079FC923
	v_cndmask_b32_e64 v33, v228, v230, s[78:79]                // 00000000AE14: D1000021 013BCDE4
	v_and_or_b32 v53, v33, v229, v32                           // 00000000AE1C: D2010035 0483CB21
	v_accvgpr_read_b32 v34, a116                               // 00000000AE24: D3D84022 18000174
	v_accvgpr_read_b32 v35, a117                               // 00000000AE2C: D3D84023 18000175
	v_mul_f32_e32 v34, s47, v34                                // 00000000AE34: 0A44442F
	v_mul_f32_e32 v35, s47, v35                                // 00000000AE38: 0A46462F
	v_cmp_u_f32_e64 s[78:79], v34, v34                         // 00000000AE3C: D048004E 00024522
	v_bfe_u32 v228, v34, 16, 1                                 // 00000000AE44: D1C800E4 02052122
	v_add3_u32 v228, v34, v228, v231                           // 00000000AE4C: D1FF00E4 079FC922
	v_cndmask_b32_e64 v32, v228, v230, s[78:79]                // 00000000AE54: D1000020 013BCDE4
	v_lshrrev_b32_e32 v32, 16, v32                             // 00000000AE5C: 20404090
	v_cmp_u_f32_e64 s[78:79], v35, v35                         // 00000000AE60: D048004E 00024723
	v_bfe_u32 v228, v35, 16, 1                                 // 00000000AE68: D1C800E4 02052123
	v_add3_u32 v228, v35, v228, v231                           // 00000000AE70: D1FF00E4 079FC923
	v_cndmask_b32_e64 v33, v228, v230, s[78:79]                // 00000000AE78: D1000021 013BCDE4
	v_and_or_b32 v54, v33, v229, v32                           // 00000000AE80: D2010036 0483CB21
	v_accvgpr_read_b32 v34, a118                               // 00000000AE88: D3D84022 18000176
	v_accvgpr_read_b32 v35, a119                               // 00000000AE90: D3D84023 18000177
	v_mul_f32_e32 v34, s47, v34                                // 00000000AE98: 0A44442F
	v_mul_f32_e32 v35, s47, v35                                // 00000000AE9C: 0A46462F
	v_cmp_u_f32_e64 s[78:79], v34, v34                         // 00000000AEA0: D048004E 00024522
	v_bfe_u32 v228, v34, 16, 1                                 // 00000000AEA8: D1C800E4 02052122
	v_add3_u32 v228, v34, v228, v231                           // 00000000AEB0: D1FF00E4 079FC922
	v_cndmask_b32_e64 v32, v228, v230, s[78:79]                // 00000000AEB8: D1000020 013BCDE4
	v_lshrrev_b32_e32 v32, 16, v32                             // 00000000AEC0: 20404090
	v_cmp_u_f32_e64 s[78:79], v35, v35                         // 00000000AEC4: D048004E 00024723
	v_bfe_u32 v228, v35, 16, 1                                 // 00000000AECC: D1C800E4 02052123
	v_add3_u32 v228, v35, v228, v231                           // 00000000AED4: D1FF00E4 079FC923
	v_cndmask_b32_e64 v33, v228, v230, s[78:79]                // 00000000AEDC: D1000021 013BCDE4
	v_and_or_b32 v55, v33, v229, v32                           // 00000000AEE4: D2010037 0483CB21
	v_accvgpr_read_b32 v34, a120                               // 00000000AEEC: D3D84022 18000178
	v_accvgpr_read_b32 v35, a121                               // 00000000AEF4: D3D84023 18000179
	v_mul_f32_e32 v34, s47, v34                                // 00000000AEFC: 0A44442F
	v_mul_f32_e32 v35, s47, v35                                // 00000000AF00: 0A46462F
	v_cmp_u_f32_e64 s[78:79], v34, v34                         // 00000000AF04: D048004E 00024522
	v_bfe_u32 v228, v34, 16, 1                                 // 00000000AF0C: D1C800E4 02052122
	v_add3_u32 v228, v34, v228, v231                           // 00000000AF14: D1FF00E4 079FC922
	v_cndmask_b32_e64 v32, v228, v230, s[78:79]                // 00000000AF1C: D1000020 013BCDE4
	v_lshrrev_b32_e32 v32, 16, v32                             // 00000000AF24: 20404090
	v_cmp_u_f32_e64 s[78:79], v35, v35                         // 00000000AF28: D048004E 00024723
	v_bfe_u32 v228, v35, 16, 1                                 // 00000000AF30: D1C800E4 02052123
	v_add3_u32 v228, v35, v228, v231                           // 00000000AF38: D1FF00E4 079FC923
	v_cndmask_b32_e64 v33, v228, v230, s[78:79]                // 00000000AF40: D1000021 013BCDE4
	v_and_or_b32 v56, v33, v229, v32                           // 00000000AF48: D2010038 0483CB21
	v_accvgpr_read_b32 v34, a122                               // 00000000AF50: D3D84022 1800017A
	v_accvgpr_read_b32 v35, a123                               // 00000000AF58: D3D84023 1800017B
	v_mul_f32_e32 v34, s47, v34                                // 00000000AF60: 0A44442F
	v_mul_f32_e32 v35, s47, v35                                // 00000000AF64: 0A46462F
	v_cmp_u_f32_e64 s[78:79], v34, v34                         // 00000000AF68: D048004E 00024522
	v_bfe_u32 v228, v34, 16, 1                                 // 00000000AF70: D1C800E4 02052122
	v_add3_u32 v228, v34, v228, v231                           // 00000000AF78: D1FF00E4 079FC922
	v_cndmask_b32_e64 v32, v228, v230, s[78:79]                // 00000000AF80: D1000020 013BCDE4
	v_lshrrev_b32_e32 v32, 16, v32                             // 00000000AF88: 20404090
	v_cmp_u_f32_e64 s[78:79], v35, v35                         // 00000000AF8C: D048004E 00024723
	v_bfe_u32 v228, v35, 16, 1                                 // 00000000AF94: D1C800E4 02052123
	v_add3_u32 v228, v35, v228, v231                           // 00000000AF9C: D1FF00E4 079FC923
	v_cndmask_b32_e64 v33, v228, v230, s[78:79]                // 00000000AFA4: D1000021 013BCDE4
	v_and_or_b32 v57, v33, v229, v32                           // 00000000AFAC: D2010039 0483CB21
	v_accvgpr_read_b32 v34, a124                               // 00000000AFB4: D3D84022 1800017C
	v_accvgpr_read_b32 v35, a125                               // 00000000AFBC: D3D84023 1800017D
	v_mul_f32_e32 v34, s47, v34                                // 00000000AFC4: 0A44442F
	v_mul_f32_e32 v35, s47, v35                                // 00000000AFC8: 0A46462F
	v_cmp_u_f32_e64 s[78:79], v34, v34                         // 00000000AFCC: D048004E 00024522
	v_bfe_u32 v228, v34, 16, 1                                 // 00000000AFD4: D1C800E4 02052122
	v_add3_u32 v228, v34, v228, v231                           // 00000000AFDC: D1FF00E4 079FC922
	v_cndmask_b32_e64 v32, v228, v230, s[78:79]                // 00000000AFE4: D1000020 013BCDE4
	v_lshrrev_b32_e32 v32, 16, v32                             // 00000000AFEC: 20404090
	v_cmp_u_f32_e64 s[78:79], v35, v35                         // 00000000AFF0: D048004E 00024723
	v_bfe_u32 v228, v35, 16, 1                                 // 00000000AFF8: D1C800E4 02052123
	v_add3_u32 v228, v35, v228, v231                           // 00000000B000: D1FF00E4 079FC923
	v_cndmask_b32_e64 v33, v228, v230, s[78:79]                // 00000000B008: D1000021 013BCDE4
	v_and_or_b32 v58, v33, v229, v32                           // 00000000B010: D201003A 0483CB21
	v_accvgpr_read_b32 v34, a126                               // 00000000B018: D3D84022 1800017E
	v_accvgpr_read_b32 v35, a127                               // 00000000B020: D3D84023 1800017F
	v_mul_f32_e32 v34, s47, v34                                // 00000000B028: 0A44442F
	v_mul_f32_e32 v35, s47, v35                                // 00000000B02C: 0A46462F
	v_cmp_u_f32_e64 s[78:79], v34, v34                         // 00000000B030: D048004E 00024522
	v_bfe_u32 v228, v34, 16, 1                                 // 00000000B038: D1C800E4 02052122
	v_add3_u32 v228, v34, v228, v231                           // 00000000B040: D1FF00E4 079FC922
	v_cndmask_b32_e64 v32, v228, v230, s[78:79]                // 00000000B048: D1000020 013BCDE4
	v_lshrrev_b32_e32 v32, 16, v32                             // 00000000B050: 20404090
	v_cmp_u_f32_e64 s[78:79], v35, v35                         // 00000000B054: D048004E 00024723
	v_bfe_u32 v228, v35, 16, 1                                 // 00000000B05C: D1C800E4 02052123
	v_add3_u32 v228, v35, v228, v231                           // 00000000B064: D1FF00E4 079FC923
	v_cndmask_b32_e64 v33, v228, v230, s[78:79]                // 00000000B06C: D1000021 013BCDE4
	v_and_or_b32 v59, v33, v229, v32                           // 00000000B074: D201003B 0483CB21
	ds_write_b64 v27, v[52:53]                                 // 00000000B07C: D89A0000 0000341B
	ds_write_b64 v27, v[54:55] offset:544                      // 00000000B084: D89A0220 0000361B
	ds_write_b64 v27, v[56:57] offset:1088                     // 00000000B08C: D89A0440 0000381B
	ds_write_b64 v27, v[58:59] offset:1632                     // 00000000B094: D89A0660 00003A1B
	s_waitcnt lgkmcnt(0)                                       // 00000000B09C: BF8CC07F
	s_barrier                                                  // 00000000B0A0: BF8A0000
	ds_read_b64 v[52:53], v26                                  // 00000000B0A4: D8EC0000 3400001A
	ds_read_b64 v[54:55], v26 offset:128                       // 00000000B0AC: D8EC0080 3600001A
	ds_read_b64 v[56:57], v26 offset:64                        // 00000000B0B4: D8EC0040 3800001A
	ds_read_b64 v[58:59], v26 offset:192                       // 00000000B0BC: D8EC00C0 3A00001A
	s_waitcnt lgkmcnt(0)                                       // 00000000B0C4: BF8CC07F
	s_mov_b32 s70, s52                                         // 00000000B0C8: BEC60034
	buffer_store_dwordx4 v[52:55], v5, s[36:39], 0 idxen       // 00000000B0CC: E07C2000 80093405
	s_mul_i32 s60, 2, s70                                      // 00000000B0D4: 923C4682
	v_add_u32_e32 v5, s60, v5                                  // 00000000B0D8: 680A0A3C
	buffer_store_dwordx4 v[56:59], v5, s[36:39], 0 idxen       // 00000000B0DC: E07C2000 80093805
	s_mul_i32 s60, 2, s70                                      // 00000000B0E4: 923C4682
	v_add_u32_e32 v5, s60, v5                                  // 00000000B0E8: 680A0A3C
	s_mul_i32 s60, 12, s70                                     // 00000000B0EC: 923C468C
	v_add_u32_e32 v5, s60, v5                                  // 00000000B0F0: 680A0A3C
	s_barrier                                                  // 00000000B0F4: BF8A0000
	s_cmp_ge_i32 1, s72                                        // 00000000B0F8: BF034881
	s_cbranch_scc1 label_1EB6                                  // 00000000B0FC: BF8501D2
	v_accvgpr_read_b32 v34, a128                               // 00000000B100: D3D84022 18000180
	v_accvgpr_read_b32 v35, a129                               // 00000000B108: D3D84023 18000181
	v_mul_f32_e32 v34, s47, v34                                // 00000000B110: 0A44442F
	v_mul_f32_e32 v35, s47, v35                                // 00000000B114: 0A46462F
	v_cmp_u_f32_e64 s[78:79], v34, v34                         // 00000000B118: D048004E 00024522
	v_bfe_u32 v228, v34, 16, 1                                 // 00000000B120: D1C800E4 02052122
	v_add3_u32 v228, v34, v228, v231                           // 00000000B128: D1FF00E4 079FC922
	v_cndmask_b32_e64 v32, v228, v230, s[78:79]                // 00000000B130: D1000020 013BCDE4
	v_lshrrev_b32_e32 v32, 16, v32                             // 00000000B138: 20404090
	v_cmp_u_f32_e64 s[78:79], v35, v35                         // 00000000B13C: D048004E 00024723
	v_bfe_u32 v228, v35, 16, 1                                 // 00000000B144: D1C800E4 02052123
	v_add3_u32 v228, v35, v228, v231                           // 00000000B14C: D1FF00E4 079FC923
	v_cndmask_b32_e64 v33, v228, v230, s[78:79]                // 00000000B154: D1000021 013BCDE4
	v_and_or_b32 v60, v33, v229, v32                           // 00000000B15C: D201003C 0483CB21
	v_accvgpr_read_b32 v34, a130                               // 00000000B164: D3D84022 18000182
	v_accvgpr_read_b32 v35, a131                               // 00000000B16C: D3D84023 18000183
	v_mul_f32_e32 v34, s47, v34                                // 00000000B174: 0A44442F
	v_mul_f32_e32 v35, s47, v35                                // 00000000B178: 0A46462F
	v_cmp_u_f32_e64 s[78:79], v34, v34                         // 00000000B17C: D048004E 00024522
	v_bfe_u32 v228, v34, 16, 1                                 // 00000000B184: D1C800E4 02052122
	v_add3_u32 v228, v34, v228, v231                           // 00000000B18C: D1FF00E4 079FC922
	v_cndmask_b32_e64 v32, v228, v230, s[78:79]                // 00000000B194: D1000020 013BCDE4
	v_lshrrev_b32_e32 v32, 16, v32                             // 00000000B19C: 20404090
	v_cmp_u_f32_e64 s[78:79], v35, v35                         // 00000000B1A0: D048004E 00024723
	v_bfe_u32 v228, v35, 16, 1                                 // 00000000B1A8: D1C800E4 02052123
	v_add3_u32 v228, v35, v228, v231                           // 00000000B1B0: D1FF00E4 079FC923
	v_cndmask_b32_e64 v33, v228, v230, s[78:79]                // 00000000B1B8: D1000021 013BCDE4
	v_and_or_b32 v61, v33, v229, v32                           // 00000000B1C0: D201003D 0483CB21
	v_accvgpr_read_b32 v34, a132                               // 00000000B1C8: D3D84022 18000184
	v_accvgpr_read_b32 v35, a133                               // 00000000B1D0: D3D84023 18000185
	v_mul_f32_e32 v34, s47, v34                                // 00000000B1D8: 0A44442F
	v_mul_f32_e32 v35, s47, v35                                // 00000000B1DC: 0A46462F
	v_cmp_u_f32_e64 s[78:79], v34, v34                         // 00000000B1E0: D048004E 00024522
	v_bfe_u32 v228, v34, 16, 1                                 // 00000000B1E8: D1C800E4 02052122
	v_add3_u32 v228, v34, v228, v231                           // 00000000B1F0: D1FF00E4 079FC922
	v_cndmask_b32_e64 v32, v228, v230, s[78:79]                // 00000000B1F8: D1000020 013BCDE4
	v_lshrrev_b32_e32 v32, 16, v32                             // 00000000B200: 20404090
	v_cmp_u_f32_e64 s[78:79], v35, v35                         // 00000000B204: D048004E 00024723
	v_bfe_u32 v228, v35, 16, 1                                 // 00000000B20C: D1C800E4 02052123
	v_add3_u32 v228, v35, v228, v231                           // 00000000B214: D1FF00E4 079FC923
	v_cndmask_b32_e64 v33, v228, v230, s[78:79]                // 00000000B21C: D1000021 013BCDE4
	v_and_or_b32 v62, v33, v229, v32                           // 00000000B224: D201003E 0483CB21
	v_accvgpr_read_b32 v34, a134                               // 00000000B22C: D3D84022 18000186
	v_accvgpr_read_b32 v35, a135                               // 00000000B234: D3D84023 18000187
	v_mul_f32_e32 v34, s47, v34                                // 00000000B23C: 0A44442F
	v_mul_f32_e32 v35, s47, v35                                // 00000000B240: 0A46462F
	v_cmp_u_f32_e64 s[78:79], v34, v34                         // 00000000B244: D048004E 00024522
	v_bfe_u32 v228, v34, 16, 1                                 // 00000000B24C: D1C800E4 02052122
	v_add3_u32 v228, v34, v228, v231                           // 00000000B254: D1FF00E4 079FC922
	v_cndmask_b32_e64 v32, v228, v230, s[78:79]                // 00000000B25C: D1000020 013BCDE4
	v_lshrrev_b32_e32 v32, 16, v32                             // 00000000B264: 20404090
	v_cmp_u_f32_e64 s[78:79], v35, v35                         // 00000000B268: D048004E 00024723
	v_bfe_u32 v228, v35, 16, 1                                 // 00000000B270: D1C800E4 02052123
	v_add3_u32 v228, v35, v228, v231                           // 00000000B278: D1FF00E4 079FC923
	v_cndmask_b32_e64 v33, v228, v230, s[78:79]                // 00000000B280: D1000021 013BCDE4
	v_and_or_b32 v63, v33, v229, v32                           // 00000000B288: D201003F 0483CB21
	v_accvgpr_read_b32 v34, a136                               // 00000000B290: D3D84022 18000188
	v_accvgpr_read_b32 v35, a137                               // 00000000B298: D3D84023 18000189
	v_mul_f32_e32 v34, s47, v34                                // 00000000B2A0: 0A44442F
	v_mul_f32_e32 v35, s47, v35                                // 00000000B2A4: 0A46462F
	v_cmp_u_f32_e64 s[78:79], v34, v34                         // 00000000B2A8: D048004E 00024522
	v_bfe_u32 v228, v34, 16, 1                                 // 00000000B2B0: D1C800E4 02052122
	v_add3_u32 v228, v34, v228, v231                           // 00000000B2B8: D1FF00E4 079FC922
	v_cndmask_b32_e64 v32, v228, v230, s[78:79]                // 00000000B2C0: D1000020 013BCDE4
	v_lshrrev_b32_e32 v32, 16, v32                             // 00000000B2C8: 20404090
	v_cmp_u_f32_e64 s[78:79], v35, v35                         // 00000000B2CC: D048004E 00024723
	v_bfe_u32 v228, v35, 16, 1                                 // 00000000B2D4: D1C800E4 02052123
	v_add3_u32 v228, v35, v228, v231                           // 00000000B2DC: D1FF00E4 079FC923
	v_cndmask_b32_e64 v33, v228, v230, s[78:79]                // 00000000B2E4: D1000021 013BCDE4
	v_and_or_b32 v64, v33, v229, v32                           // 00000000B2EC: D2010040 0483CB21
	v_accvgpr_read_b32 v34, a138                               // 00000000B2F4: D3D84022 1800018A
	v_accvgpr_read_b32 v35, a139                               // 00000000B2FC: D3D84023 1800018B
	v_mul_f32_e32 v34, s47, v34                                // 00000000B304: 0A44442F
	v_mul_f32_e32 v35, s47, v35                                // 00000000B308: 0A46462F
	v_cmp_u_f32_e64 s[78:79], v34, v34                         // 00000000B30C: D048004E 00024522
	v_bfe_u32 v228, v34, 16, 1                                 // 00000000B314: D1C800E4 02052122
	v_add3_u32 v228, v34, v228, v231                           // 00000000B31C: D1FF00E4 079FC922
	v_cndmask_b32_e64 v32, v228, v230, s[78:79]                // 00000000B324: D1000020 013BCDE4
	v_lshrrev_b32_e32 v32, 16, v32                             // 00000000B32C: 20404090
	v_cmp_u_f32_e64 s[78:79], v35, v35                         // 00000000B330: D048004E 00024723
	v_bfe_u32 v228, v35, 16, 1                                 // 00000000B338: D1C800E4 02052123
	v_add3_u32 v228, v35, v228, v231                           // 00000000B340: D1FF00E4 079FC923
	v_cndmask_b32_e64 v33, v228, v230, s[78:79]                // 00000000B348: D1000021 013BCDE4
	v_and_or_b32 v65, v33, v229, v32                           // 00000000B350: D2010041 0483CB21
	v_accvgpr_read_b32 v34, a140                               // 00000000B358: D3D84022 1800018C
	v_accvgpr_read_b32 v35, a141                               // 00000000B360: D3D84023 1800018D
	v_mul_f32_e32 v34, s47, v34                                // 00000000B368: 0A44442F
	v_mul_f32_e32 v35, s47, v35                                // 00000000B36C: 0A46462F
	v_cmp_u_f32_e64 s[78:79], v34, v34                         // 00000000B370: D048004E 00024522
	v_bfe_u32 v228, v34, 16, 1                                 // 00000000B378: D1C800E4 02052122
	v_add3_u32 v228, v34, v228, v231                           // 00000000B380: D1FF00E4 079FC922
	v_cndmask_b32_e64 v32, v228, v230, s[78:79]                // 00000000B388: D1000020 013BCDE4
	v_lshrrev_b32_e32 v32, 16, v32                             // 00000000B390: 20404090
	v_cmp_u_f32_e64 s[78:79], v35, v35                         // 00000000B394: D048004E 00024723
	v_bfe_u32 v228, v35, 16, 1                                 // 00000000B39C: D1C800E4 02052123
	v_add3_u32 v228, v35, v228, v231                           // 00000000B3A4: D1FF00E4 079FC923
	v_cndmask_b32_e64 v33, v228, v230, s[78:79]                // 00000000B3AC: D1000021 013BCDE4
	v_and_or_b32 v66, v33, v229, v32                           // 00000000B3B4: D2010042 0483CB21
	v_accvgpr_read_b32 v34, a142                               // 00000000B3BC: D3D84022 1800018E
	v_accvgpr_read_b32 v35, a143                               // 00000000B3C4: D3D84023 1800018F
	v_mul_f32_e32 v34, s47, v34                                // 00000000B3CC: 0A44442F
	v_mul_f32_e32 v35, s47, v35                                // 00000000B3D0: 0A46462F
	v_cmp_u_f32_e64 s[78:79], v34, v34                         // 00000000B3D4: D048004E 00024522
	v_bfe_u32 v228, v34, 16, 1                                 // 00000000B3DC: D1C800E4 02052122
	v_add3_u32 v228, v34, v228, v231                           // 00000000B3E4: D1FF00E4 079FC922
	v_cndmask_b32_e64 v32, v228, v230, s[78:79]                // 00000000B3EC: D1000020 013BCDE4
	v_lshrrev_b32_e32 v32, 16, v32                             // 00000000B3F4: 20404090
	v_cmp_u_f32_e64 s[78:79], v35, v35                         // 00000000B3F8: D048004E 00024723
	v_bfe_u32 v228, v35, 16, 1                                 // 00000000B400: D1C800E4 02052123
	v_add3_u32 v228, v35, v228, v231                           // 00000000B408: D1FF00E4 079FC923
	v_cndmask_b32_e64 v33, v228, v230, s[78:79]                // 00000000B410: D1000021 013BCDE4
	v_and_or_b32 v67, v33, v229, v32                           // 00000000B418: D2010043 0483CB21
	ds_write_b64 v27, v[60:61] offset:8704                     // 00000000B420: D89A2200 00003C1B
	ds_write_b64 v27, v[62:63] offset:9248                     // 00000000B428: D89A2420 00003E1B
	ds_write_b64 v27, v[64:65] offset:9792                     // 00000000B430: D89A2640 0000401B
	ds_write_b64 v27, v[66:67] offset:10336                    // 00000000B438: D89A2860 0000421B
	s_waitcnt lgkmcnt(0)                                       // 00000000B440: BF8CC07F
	s_barrier                                                  // 00000000B444: BF8A0000
	ds_read_b64 v[60:61], v26 offset:8704                      // 00000000B448: D8EC2200 3C00001A
	ds_read_b64 v[62:63], v26 offset:8832                      // 00000000B450: D8EC2280 3E00001A
	ds_read_b64 v[64:65], v26 offset:8768                      // 00000000B458: D8EC2240 4000001A
	ds_read_b64 v[66:67], v26 offset:8896                      // 00000000B460: D8EC22C0 4200001A
	s_waitcnt lgkmcnt(0)                                       // 00000000B468: BF8CC07F
	s_mov_b32 s70, s52                                         // 00000000B46C: BEC60034
	buffer_store_dwordx4 v[60:63], v5, s[36:39], 0 idxen       // 00000000B470: E07C2000 80093C05
	s_mul_i32 s60, 2, s70                                      // 00000000B478: 923C4682
	v_add_u32_e32 v5, s60, v5                                  // 00000000B47C: 680A0A3C
	buffer_store_dwordx4 v[64:67], v5, s[36:39], 0 idxen       // 00000000B480: E07C2000 80094005
	s_mul_i32 s60, 2, s70                                      // 00000000B488: 923C4682
	v_add_u32_e32 v5, s60, v5                                  // 00000000B48C: 680A0A3C
	s_mul_i32 s60, 12, s70                                     // 00000000B490: 923C468C
	v_add_u32_e32 v5, s60, v5                                  // 00000000B494: 680A0A3C
	s_barrier                                                  // 00000000B498: BF8A0000
	s_cmp_ge_i32 2, s72                                        // 00000000B49C: BF034882
	s_cbranch_scc1 label_1EB6                                  // 00000000B4A0: BF8500E9
	v_accvgpr_read_b32 v34, a144                               // 00000000B4A4: D3D84022 18000190
	v_accvgpr_read_b32 v35, a145                               // 00000000B4AC: D3D84023 18000191
	v_mul_f32_e32 v34, s47, v34                                // 00000000B4B4: 0A44442F
	v_mul_f32_e32 v35, s47, v35                                // 00000000B4B8: 0A46462F
	v_cmp_u_f32_e64 s[78:79], v34, v34                         // 00000000B4BC: D048004E 00024522
	v_bfe_u32 v228, v34, 16, 1                                 // 00000000B4C4: D1C800E4 02052122
	v_add3_u32 v228, v34, v228, v231                           // 00000000B4CC: D1FF00E4 079FC922
	v_cndmask_b32_e64 v32, v228, v230, s[78:79]                // 00000000B4D4: D1000020 013BCDE4
	v_lshrrev_b32_e32 v32, 16, v32                             // 00000000B4DC: 20404090
	v_cmp_u_f32_e64 s[78:79], v35, v35                         // 00000000B4E0: D048004E 00024723
	v_bfe_u32 v228, v35, 16, 1                                 // 00000000B4E8: D1C800E4 02052123
	v_add3_u32 v228, v35, v228, v231                           // 00000000B4F0: D1FF00E4 079FC923
	v_cndmask_b32_e64 v33, v228, v230, s[78:79]                // 00000000B4F8: D1000021 013BCDE4
	v_and_or_b32 v68, v33, v229, v32                           // 00000000B500: D2010044 0483CB21
	v_accvgpr_read_b32 v34, a146                               // 00000000B508: D3D84022 18000192
	v_accvgpr_read_b32 v35, a147                               // 00000000B510: D3D84023 18000193
	v_mul_f32_e32 v34, s47, v34                                // 00000000B518: 0A44442F
	v_mul_f32_e32 v35, s47, v35                                // 00000000B51C: 0A46462F
	v_cmp_u_f32_e64 s[78:79], v34, v34                         // 00000000B520: D048004E 00024522
	v_bfe_u32 v228, v34, 16, 1                                 // 00000000B528: D1C800E4 02052122
	v_add3_u32 v228, v34, v228, v231                           // 00000000B530: D1FF00E4 079FC922
	v_cndmask_b32_e64 v32, v228, v230, s[78:79]                // 00000000B538: D1000020 013BCDE4
	v_lshrrev_b32_e32 v32, 16, v32                             // 00000000B540: 20404090
	v_cmp_u_f32_e64 s[78:79], v35, v35                         // 00000000B544: D048004E 00024723
	v_bfe_u32 v228, v35, 16, 1                                 // 00000000B54C: D1C800E4 02052123
	v_add3_u32 v228, v35, v228, v231                           // 00000000B554: D1FF00E4 079FC923
	v_cndmask_b32_e64 v33, v228, v230, s[78:79]                // 00000000B55C: D1000021 013BCDE4
	v_and_or_b32 v69, v33, v229, v32                           // 00000000B564: D2010045 0483CB21
	v_accvgpr_read_b32 v34, a148                               // 00000000B56C: D3D84022 18000194
	v_accvgpr_read_b32 v35, a149                               // 00000000B574: D3D84023 18000195
	v_mul_f32_e32 v34, s47, v34                                // 00000000B57C: 0A44442F
	v_mul_f32_e32 v35, s47, v35                                // 00000000B580: 0A46462F
	v_cmp_u_f32_e64 s[78:79], v34, v34                         // 00000000B584: D048004E 00024522
	v_bfe_u32 v228, v34, 16, 1                                 // 00000000B58C: D1C800E4 02052122
	v_add3_u32 v228, v34, v228, v231                           // 00000000B594: D1FF00E4 079FC922
	v_cndmask_b32_e64 v32, v228, v230, s[78:79]                // 00000000B59C: D1000020 013BCDE4
	v_lshrrev_b32_e32 v32, 16, v32                             // 00000000B5A4: 20404090
	v_cmp_u_f32_e64 s[78:79], v35, v35                         // 00000000B5A8: D048004E 00024723
	v_bfe_u32 v228, v35, 16, 1                                 // 00000000B5B0: D1C800E4 02052123
	v_add3_u32 v228, v35, v228, v231                           // 00000000B5B8: D1FF00E4 079FC923
	v_cndmask_b32_e64 v33, v228, v230, s[78:79]                // 00000000B5C0: D1000021 013BCDE4
	v_and_or_b32 v70, v33, v229, v32                           // 00000000B5C8: D2010046 0483CB21
	v_accvgpr_read_b32 v34, a150                               // 00000000B5D0: D3D84022 18000196
	v_accvgpr_read_b32 v35, a151                               // 00000000B5D8: D3D84023 18000197
	v_mul_f32_e32 v34, s47, v34                                // 00000000B5E0: 0A44442F
	v_mul_f32_e32 v35, s47, v35                                // 00000000B5E4: 0A46462F
	v_cmp_u_f32_e64 s[78:79], v34, v34                         // 00000000B5E8: D048004E 00024522
	v_bfe_u32 v228, v34, 16, 1                                 // 00000000B5F0: D1C800E4 02052122
	v_add3_u32 v228, v34, v228, v231                           // 00000000B5F8: D1FF00E4 079FC922
	v_cndmask_b32_e64 v32, v228, v230, s[78:79]                // 00000000B600: D1000020 013BCDE4
	v_lshrrev_b32_e32 v32, 16, v32                             // 00000000B608: 20404090
	v_cmp_u_f32_e64 s[78:79], v35, v35                         // 00000000B60C: D048004E 00024723
	v_bfe_u32 v228, v35, 16, 1                                 // 00000000B614: D1C800E4 02052123
	v_add3_u32 v228, v35, v228, v231                           // 00000000B61C: D1FF00E4 079FC923
	v_cndmask_b32_e64 v33, v228, v230, s[78:79]                // 00000000B624: D1000021 013BCDE4
	v_and_or_b32 v71, v33, v229, v32                           // 00000000B62C: D2010047 0483CB21
	v_accvgpr_read_b32 v34, a152                               // 00000000B634: D3D84022 18000198
	v_accvgpr_read_b32 v35, a153                               // 00000000B63C: D3D84023 18000199
	v_mul_f32_e32 v34, s47, v34                                // 00000000B644: 0A44442F
	v_mul_f32_e32 v35, s47, v35                                // 00000000B648: 0A46462F
	v_cmp_u_f32_e64 s[78:79], v34, v34                         // 00000000B64C: D048004E 00024522
	v_bfe_u32 v228, v34, 16, 1                                 // 00000000B654: D1C800E4 02052122
	v_add3_u32 v228, v34, v228, v231                           // 00000000B65C: D1FF00E4 079FC922
	v_cndmask_b32_e64 v32, v228, v230, s[78:79]                // 00000000B664: D1000020 013BCDE4
	v_lshrrev_b32_e32 v32, 16, v32                             // 00000000B66C: 20404090
	v_cmp_u_f32_e64 s[78:79], v35, v35                         // 00000000B670: D048004E 00024723
	v_bfe_u32 v228, v35, 16, 1                                 // 00000000B678: D1C800E4 02052123
	v_add3_u32 v228, v35, v228, v231                           // 00000000B680: D1FF00E4 079FC923
	v_cndmask_b32_e64 v33, v228, v230, s[78:79]                // 00000000B688: D1000021 013BCDE4
	v_and_or_b32 v72, v33, v229, v32                           // 00000000B690: D2010048 0483CB21
	v_accvgpr_read_b32 v34, a154                               // 00000000B698: D3D84022 1800019A
	v_accvgpr_read_b32 v35, a155                               // 00000000B6A0: D3D84023 1800019B
	v_mul_f32_e32 v34, s47, v34                                // 00000000B6A8: 0A44442F
	v_mul_f32_e32 v35, s47, v35                                // 00000000B6AC: 0A46462F
	v_cmp_u_f32_e64 s[78:79], v34, v34                         // 00000000B6B0: D048004E 00024522
	v_bfe_u32 v228, v34, 16, 1                                 // 00000000B6B8: D1C800E4 02052122
	v_add3_u32 v228, v34, v228, v231                           // 00000000B6C0: D1FF00E4 079FC922
	v_cndmask_b32_e64 v32, v228, v230, s[78:79]                // 00000000B6C8: D1000020 013BCDE4
	v_lshrrev_b32_e32 v32, 16, v32                             // 00000000B6D0: 20404090
	v_cmp_u_f32_e64 s[78:79], v35, v35                         // 00000000B6D4: D048004E 00024723
	v_bfe_u32 v228, v35, 16, 1                                 // 00000000B6DC: D1C800E4 02052123
	v_add3_u32 v228, v35, v228, v231                           // 00000000B6E4: D1FF00E4 079FC923
	v_cndmask_b32_e64 v33, v228, v230, s[78:79]                // 00000000B6EC: D1000021 013BCDE4
	v_and_or_b32 v73, v33, v229, v32                           // 00000000B6F4: D2010049 0483CB21
	v_accvgpr_read_b32 v34, a156                               // 00000000B6FC: D3D84022 1800019C
	v_accvgpr_read_b32 v35, a157                               // 00000000B704: D3D84023 1800019D
	v_mul_f32_e32 v34, s47, v34                                // 00000000B70C: 0A44442F
	v_mul_f32_e32 v35, s47, v35                                // 00000000B710: 0A46462F
	v_cmp_u_f32_e64 s[78:79], v34, v34                         // 00000000B714: D048004E 00024522
	v_bfe_u32 v228, v34, 16, 1                                 // 00000000B71C: D1C800E4 02052122
	v_add3_u32 v228, v34, v228, v231                           // 00000000B724: D1FF00E4 079FC922
	v_cndmask_b32_e64 v32, v228, v230, s[78:79]                // 00000000B72C: D1000020 013BCDE4
	v_lshrrev_b32_e32 v32, 16, v32                             // 00000000B734: 20404090
	v_cmp_u_f32_e64 s[78:79], v35, v35                         // 00000000B738: D048004E 00024723
	v_bfe_u32 v228, v35, 16, 1                                 // 00000000B740: D1C800E4 02052123
	v_add3_u32 v228, v35, v228, v231                           // 00000000B748: D1FF00E4 079FC923
	v_cndmask_b32_e64 v33, v228, v230, s[78:79]                // 00000000B750: D1000021 013BCDE4
	v_and_or_b32 v74, v33, v229, v32                           // 00000000B758: D201004A 0483CB21
	v_accvgpr_read_b32 v34, a158                               // 00000000B760: D3D84022 1800019E
	v_accvgpr_read_b32 v35, a159                               // 00000000B768: D3D84023 1800019F
	v_mul_f32_e32 v34, s47, v34                                // 00000000B770: 0A44442F
	v_mul_f32_e32 v35, s47, v35                                // 00000000B774: 0A46462F
	v_cmp_u_f32_e64 s[78:79], v34, v34                         // 00000000B778: D048004E 00024522
	v_bfe_u32 v228, v34, 16, 1                                 // 00000000B780: D1C800E4 02052122
	v_add3_u32 v228, v34, v228, v231                           // 00000000B788: D1FF00E4 079FC922
	v_cndmask_b32_e64 v32, v228, v230, s[78:79]                // 00000000B790: D1000020 013BCDE4
	v_lshrrev_b32_e32 v32, 16, v32                             // 00000000B798: 20404090
	v_cmp_u_f32_e64 s[78:79], v35, v35                         // 00000000B79C: D048004E 00024723
	v_bfe_u32 v228, v35, 16, 1                                 // 00000000B7A4: D1C800E4 02052123
	v_add3_u32 v228, v35, v228, v231                           // 00000000B7AC: D1FF00E4 079FC923
	v_cndmask_b32_e64 v33, v228, v230, s[78:79]                // 00000000B7B4: D1000021 013BCDE4
	v_and_or_b32 v75, v33, v229, v32                           // 00000000B7BC: D201004B 0483CB21
	ds_write_b64 v27, v[68:69] offset:17408                    // 00000000B7C4: D89A4400 0000441B
	ds_write_b64 v27, v[70:71] offset:17952                    // 00000000B7CC: D89A4620 0000461B
	ds_write_b64 v27, v[72:73] offset:18496                    // 00000000B7D4: D89A4840 0000481B
	ds_write_b64 v27, v[74:75] offset:19040                    // 00000000B7DC: D89A4A60 00004A1B
	s_waitcnt lgkmcnt(0)                                       // 00000000B7E4: BF8CC07F
	s_barrier                                                  // 00000000B7E8: BF8A0000
	ds_read_b64 v[68:69], v26 offset:17408                     // 00000000B7EC: D8EC4400 4400001A
	ds_read_b64 v[70:71], v26 offset:17536                     // 00000000B7F4: D8EC4480 4600001A
	ds_read_b64 v[72:73], v26 offset:17472                     // 00000000B7FC: D8EC4440 4800001A
	ds_read_b64 v[74:75], v26 offset:17600                     // 00000000B804: D8EC44C0 4A00001A
	s_waitcnt lgkmcnt(0)                                       // 00000000B80C: BF8CC07F
	s_mov_b32 s70, s52                                         // 00000000B810: BEC60034
	buffer_store_dwordx4 v[68:71], v5, s[36:39], 0 idxen       // 00000000B814: E07C2000 80094405
	s_mul_i32 s60, 2, s70                                      // 00000000B81C: 923C4682
	v_add_u32_e32 v5, s60, v5                                  // 00000000B820: 680A0A3C
	buffer_store_dwordx4 v[72:75], v5, s[36:39], 0 idxen       // 00000000B824: E07C2000 80094805
	s_mul_i32 s60, 2, s70                                      // 00000000B82C: 923C4682
	v_add_u32_e32 v5, s60, v5                                  // 00000000B830: 680A0A3C
	s_mul_i32 s60, 12, s70                                     // 00000000B834: 923C468C
	v_add_u32_e32 v5, s60, v5                                  // 00000000B838: 680A0A3C
	s_barrier                                                  // 00000000B83C: BF8A0000
	s_cmp_ge_i32 3, s72                                        // 00000000B840: BF034883
	s_cbranch_scc1 label_1EB6                                  // 00000000B844: BF850000

000000000000b848 <label_1EB6>:
	v_mov_b32_e32 v34, v180                                    // 00000000B848: 7E4403B4
	v_mov_b32_e32 v35, v181                                    // 00000000B84C: 7E4603B5
	v_cmp_u_f32_e64 s[78:79], v34, v34                         // 00000000B850: D048004E 00024522
	v_bfe_u32 v228, v34, 16, 1                                 // 00000000B858: D1C800E4 02052122
	v_add3_u32 v228, v34, v228, v231                           // 00000000B860: D1FF00E4 079FC922
	v_cndmask_b32_e64 v32, v228, v230, s[78:79]                // 00000000B868: D1000020 013BCDE4
	v_lshrrev_b32_e32 v32, 16, v32                             // 00000000B870: 20404090
	v_cmp_u_f32_e64 s[78:79], v35, v35                         // 00000000B874: D048004E 00024723
	v_bfe_u32 v228, v35, 16, 1                                 // 00000000B87C: D1C800E4 02052123
	v_add3_u32 v228, v35, v228, v231                           // 00000000B884: D1FF00E4 079FC923
	v_cndmask_b32_e64 v33, v228, v230, s[78:79]                // 00000000B88C: D1000021 013BCDE4
	v_and_or_b32 v180, v33, v229, v32                          // 00000000B894: D20100B4 0483CB21
	v_mov_b32_e32 v34, v182                                    // 00000000B89C: 7E4403B6
	v_mov_b32_e32 v35, v183                                    // 00000000B8A0: 7E4603B7
	v_cmp_u_f32_e64 s[78:79], v34, v34                         // 00000000B8A4: D048004E 00024522
	v_bfe_u32 v228, v34, 16, 1                                 // 00000000B8AC: D1C800E4 02052122
	v_add3_u32 v228, v34, v228, v231                           // 00000000B8B4: D1FF00E4 079FC922
	v_cndmask_b32_e64 v32, v228, v230, s[78:79]                // 00000000B8BC: D1000020 013BCDE4
	v_lshrrev_b32_e32 v32, 16, v32                             // 00000000B8C4: 20404090
	v_cmp_u_f32_e64 s[78:79], v35, v35                         // 00000000B8C8: D048004E 00024723
	v_bfe_u32 v228, v35, 16, 1                                 // 00000000B8D0: D1C800E4 02052123
	v_add3_u32 v228, v35, v228, v231                           // 00000000B8D8: D1FF00E4 079FC923
	v_cndmask_b32_e64 v33, v228, v230, s[78:79]                // 00000000B8E0: D1000021 013BCDE4
	v_and_or_b32 v181, v33, v229, v32                          // 00000000B8E8: D20100B5 0483CB21
	v_mov_b32_e32 v34, v184                                    // 00000000B8F0: 7E4403B8
	v_mov_b32_e32 v35, v185                                    // 00000000B8F4: 7E4603B9
	v_cmp_u_f32_e64 s[78:79], v34, v34                         // 00000000B8F8: D048004E 00024522
	v_bfe_u32 v228, v34, 16, 1                                 // 00000000B900: D1C800E4 02052122
	v_add3_u32 v228, v34, v228, v231                           // 00000000B908: D1FF00E4 079FC922
	v_cndmask_b32_e64 v32, v228, v230, s[78:79]                // 00000000B910: D1000020 013BCDE4
	v_lshrrev_b32_e32 v32, 16, v32                             // 00000000B918: 20404090
	v_cmp_u_f32_e64 s[78:79], v35, v35                         // 00000000B91C: D048004E 00024723
	v_bfe_u32 v228, v35, 16, 1                                 // 00000000B924: D1C800E4 02052123
	v_add3_u32 v228, v35, v228, v231                           // 00000000B92C: D1FF00E4 079FC923
	v_cndmask_b32_e64 v33, v228, v230, s[78:79]                // 00000000B934: D1000021 013BCDE4
	v_and_or_b32 v182, v33, v229, v32                          // 00000000B93C: D20100B6 0483CB21
	v_mov_b32_e32 v34, v186                                    // 00000000B944: 7E4403BA
	v_mov_b32_e32 v35, v187                                    // 00000000B948: 7E4603BB
	v_cmp_u_f32_e64 s[78:79], v34, v34                         // 00000000B94C: D048004E 00024522
	v_bfe_u32 v228, v34, 16, 1                                 // 00000000B954: D1C800E4 02052122
	v_add3_u32 v228, v34, v228, v231                           // 00000000B95C: D1FF00E4 079FC922
	v_cndmask_b32_e64 v32, v228, v230, s[78:79]                // 00000000B964: D1000020 013BCDE4
	v_lshrrev_b32_e32 v32, 16, v32                             // 00000000B96C: 20404090
	v_cmp_u_f32_e64 s[78:79], v35, v35                         // 00000000B970: D048004E 00024723
	v_bfe_u32 v228, v35, 16, 1                                 // 00000000B978: D1C800E4 02052123
	v_add3_u32 v228, v35, v228, v231                           // 00000000B980: D1FF00E4 079FC923
	v_cndmask_b32_e64 v33, v228, v230, s[78:79]                // 00000000B988: D1000021 013BCDE4
	v_and_or_b32 v183, v33, v229, v32                          // 00000000B990: D20100B7 0483CB21
	v_mov_b32_e32 v34, v188                                    // 00000000B998: 7E4403BC
	v_mov_b32_e32 v35, v189                                    // 00000000B99C: 7E4603BD
	v_cmp_u_f32_e64 s[78:79], v34, v34                         // 00000000B9A0: D048004E 00024522
	v_bfe_u32 v228, v34, 16, 1                                 // 00000000B9A8: D1C800E4 02052122
	v_add3_u32 v228, v34, v228, v231                           // 00000000B9B0: D1FF00E4 079FC922
	v_cndmask_b32_e64 v32, v228, v230, s[78:79]                // 00000000B9B8: D1000020 013BCDE4
	v_lshrrev_b32_e32 v32, 16, v32                             // 00000000B9C0: 20404090
	v_cmp_u_f32_e64 s[78:79], v35, v35                         // 00000000B9C4: D048004E 00024723
	v_bfe_u32 v228, v35, 16, 1                                 // 00000000B9CC: D1C800E4 02052123
	v_add3_u32 v228, v35, v228, v231                           // 00000000B9D4: D1FF00E4 079FC923
	v_cndmask_b32_e64 v33, v228, v230, s[78:79]                // 00000000B9DC: D1000021 013BCDE4
	v_and_or_b32 v184, v33, v229, v32                          // 00000000B9E4: D20100B8 0483CB21
	v_mov_b32_e32 v34, v190                                    // 00000000B9EC: 7E4403BE
	v_mov_b32_e32 v35, v191                                    // 00000000B9F0: 7E4603BF
	v_cmp_u_f32_e64 s[78:79], v34, v34                         // 00000000B9F4: D048004E 00024522
	v_bfe_u32 v228, v34, 16, 1                                 // 00000000B9FC: D1C800E4 02052122
	v_add3_u32 v228, v34, v228, v231                           // 00000000BA04: D1FF00E4 079FC922
	v_cndmask_b32_e64 v32, v228, v230, s[78:79]                // 00000000BA0C: D1000020 013BCDE4
	v_lshrrev_b32_e32 v32, 16, v32                             // 00000000BA14: 20404090
	v_cmp_u_f32_e64 s[78:79], v35, v35                         // 00000000BA18: D048004E 00024723
	v_bfe_u32 v228, v35, 16, 1                                 // 00000000BA20: D1C800E4 02052123
	v_add3_u32 v228, v35, v228, v231                           // 00000000BA28: D1FF00E4 079FC923
	v_cndmask_b32_e64 v33, v228, v230, s[78:79]                // 00000000BA30: D1000021 013BCDE4
	v_and_or_b32 v185, v33, v229, v32                          // 00000000BA38: D20100B9 0483CB21
	v_mov_b32_e32 v34, v192                                    // 00000000BA40: 7E4403C0
	v_mov_b32_e32 v35, v193                                    // 00000000BA44: 7E4603C1
	v_cmp_u_f32_e64 s[78:79], v34, v34                         // 00000000BA48: D048004E 00024522
	v_bfe_u32 v228, v34, 16, 1                                 // 00000000BA50: D1C800E4 02052122
	v_add3_u32 v228, v34, v228, v231                           // 00000000BA58: D1FF00E4 079FC922
	v_cndmask_b32_e64 v32, v228, v230, s[78:79]                // 00000000BA60: D1000020 013BCDE4
	v_lshrrev_b32_e32 v32, 16, v32                             // 00000000BA68: 20404090
	v_cmp_u_f32_e64 s[78:79], v35, v35                         // 00000000BA6C: D048004E 00024723
	v_bfe_u32 v228, v35, 16, 1                                 // 00000000BA74: D1C800E4 02052123
	v_add3_u32 v228, v35, v228, v231                           // 00000000BA7C: D1FF00E4 079FC923
	v_cndmask_b32_e64 v33, v228, v230, s[78:79]                // 00000000BA84: D1000021 013BCDE4
	v_and_or_b32 v186, v33, v229, v32                          // 00000000BA8C: D20100BA 0483CB21
	v_mov_b32_e32 v34, v194                                    // 00000000BA94: 7E4403C2
	v_mov_b32_e32 v35, v195                                    // 00000000BA98: 7E4603C3
	v_cmp_u_f32_e64 s[78:79], v34, v34                         // 00000000BA9C: D048004E 00024522
	v_bfe_u32 v228, v34, 16, 1                                 // 00000000BAA4: D1C800E4 02052122
	v_add3_u32 v228, v34, v228, v231                           // 00000000BAAC: D1FF00E4 079FC922
	v_cndmask_b32_e64 v32, v228, v230, s[78:79]                // 00000000BAB4: D1000020 013BCDE4
	v_lshrrev_b32_e32 v32, 16, v32                             // 00000000BABC: 20404090
	v_cmp_u_f32_e64 s[78:79], v35, v35                         // 00000000BAC0: D048004E 00024723
	v_bfe_u32 v228, v35, 16, 1                                 // 00000000BAC8: D1C800E4 02052123
	v_add3_u32 v228, v35, v228, v231                           // 00000000BAD0: D1FF00E4 079FC923
	v_cndmask_b32_e64 v33, v228, v230, s[78:79]                // 00000000BAD8: D1000021 013BCDE4
	v_and_or_b32 v187, v33, v229, v32                          // 00000000BAE0: D20100BB 0483CB21
	ds_write_b64 v27, v[180:181]                               // 00000000BAE8: D89A0000 0000B41B
	ds_write_b64 v27, v[182:183] offset:544                    // 00000000BAF0: D89A0220 0000B61B
	ds_write_b64 v27, v[184:185] offset:1088                   // 00000000BAF8: D89A0440 0000B81B
	ds_write_b64 v27, v[186:187] offset:1632                   // 00000000BB00: D89A0660 0000BA1B
	s_waitcnt lgkmcnt(0)                                       // 00000000BB08: BF8CC07F
	s_barrier                                                  // 00000000BB0C: BF8A0000
	ds_read_b64 v[180:181], v26                                // 00000000BB10: D8EC0000 B400001A
	ds_read_b64 v[182:183], v26 offset:128                     // 00000000BB18: D8EC0080 B600001A
	ds_read_b64 v[184:185], v26 offset:64                      // 00000000BB20: D8EC0040 B800001A
	ds_read_b64 v[186:187], v26 offset:192                     // 00000000BB28: D8EC00C0 BA00001A
	s_waitcnt lgkmcnt(0)                                       // 00000000BB30: BF8CC07F
	s_mov_b32 s70, s53                                         // 00000000BB34: BEC60035
	buffer_store_dwordx4 v[180:183], v10, s[40:43], 0 idxen    // 00000000BB38: E07C2000 800AB40A
	s_mul_i32 s60, 2, s70                                      // 00000000BB40: 923C4682
	v_add_u32_e32 v10, s60, v10                                // 00000000BB44: 6814143C
	buffer_store_dwordx4 v[184:187], v10, s[40:43], 0 idxen    // 00000000BB48: E07C2000 800AB80A
	s_mul_i32 s60, 2, s70                                      // 00000000BB50: 923C4682
	v_add_u32_e32 v10, s60, v10                                // 00000000BB54: 6814143C
	s_mul_i32 s60, 12, s70                                     // 00000000BB58: 923C468C
	v_add_u32_e32 v10, s60, v10                                // 00000000BB5C: 6814143C
	s_cmp_ge_i32 1, s72                                        // 00000000BB60: BF034881
	s_cbranch_scc1 label_210E                                  // 00000000BB64: BF850190
	v_mov_b32_e32 v34, v196                                    // 00000000BB68: 7E4403C4
	v_mov_b32_e32 v35, v197                                    // 00000000BB6C: 7E4603C5
	v_cmp_u_f32_e64 s[78:79], v34, v34                         // 00000000BB70: D048004E 00024522
	v_bfe_u32 v228, v34, 16, 1                                 // 00000000BB78: D1C800E4 02052122
	v_add3_u32 v228, v34, v228, v231                           // 00000000BB80: D1FF00E4 079FC922
	v_cndmask_b32_e64 v32, v228, v230, s[78:79]                // 00000000BB88: D1000020 013BCDE4
	v_lshrrev_b32_e32 v32, 16, v32                             // 00000000BB90: 20404090
	v_cmp_u_f32_e64 s[78:79], v35, v35                         // 00000000BB94: D048004E 00024723
	v_bfe_u32 v228, v35, 16, 1                                 // 00000000BB9C: D1C800E4 02052123
	v_add3_u32 v228, v35, v228, v231                           // 00000000BBA4: D1FF00E4 079FC923
	v_cndmask_b32_e64 v33, v228, v230, s[78:79]                // 00000000BBAC: D1000021 013BCDE4
	v_and_or_b32 v188, v33, v229, v32                          // 00000000BBB4: D20100BC 0483CB21
	v_mov_b32_e32 v34, v198                                    // 00000000BBBC: 7E4403C6
	v_mov_b32_e32 v35, v199                                    // 00000000BBC0: 7E4603C7
	v_cmp_u_f32_e64 s[78:79], v34, v34                         // 00000000BBC4: D048004E 00024522
	v_bfe_u32 v228, v34, 16, 1                                 // 00000000BBCC: D1C800E4 02052122
	v_add3_u32 v228, v34, v228, v231                           // 00000000BBD4: D1FF00E4 079FC922
	v_cndmask_b32_e64 v32, v228, v230, s[78:79]                // 00000000BBDC: D1000020 013BCDE4
	v_lshrrev_b32_e32 v32, 16, v32                             // 00000000BBE4: 20404090
	v_cmp_u_f32_e64 s[78:79], v35, v35                         // 00000000BBE8: D048004E 00024723
	v_bfe_u32 v228, v35, 16, 1                                 // 00000000BBF0: D1C800E4 02052123
	v_add3_u32 v228, v35, v228, v231                           // 00000000BBF8: D1FF00E4 079FC923
	v_cndmask_b32_e64 v33, v228, v230, s[78:79]                // 00000000BC00: D1000021 013BCDE4
	v_and_or_b32 v189, v33, v229, v32                          // 00000000BC08: D20100BD 0483CB21
	v_mov_b32_e32 v34, v200                                    // 00000000BC10: 7E4403C8
	v_mov_b32_e32 v35, v201                                    // 00000000BC14: 7E4603C9
	v_cmp_u_f32_e64 s[78:79], v34, v34                         // 00000000BC18: D048004E 00024522
	v_bfe_u32 v228, v34, 16, 1                                 // 00000000BC20: D1C800E4 02052122
	v_add3_u32 v228, v34, v228, v231                           // 00000000BC28: D1FF00E4 079FC922
	v_cndmask_b32_e64 v32, v228, v230, s[78:79]                // 00000000BC30: D1000020 013BCDE4
	v_lshrrev_b32_e32 v32, 16, v32                             // 00000000BC38: 20404090
	v_cmp_u_f32_e64 s[78:79], v35, v35                         // 00000000BC3C: D048004E 00024723
	v_bfe_u32 v228, v35, 16, 1                                 // 00000000BC44: D1C800E4 02052123
	v_add3_u32 v228, v35, v228, v231                           // 00000000BC4C: D1FF00E4 079FC923
	v_cndmask_b32_e64 v33, v228, v230, s[78:79]                // 00000000BC54: D1000021 013BCDE4
	v_and_or_b32 v190, v33, v229, v32                          // 00000000BC5C: D20100BE 0483CB21
	v_mov_b32_e32 v34, v202                                    // 00000000BC64: 7E4403CA
	v_mov_b32_e32 v35, v203                                    // 00000000BC68: 7E4603CB
	v_cmp_u_f32_e64 s[78:79], v34, v34                         // 00000000BC6C: D048004E 00024522
	v_bfe_u32 v228, v34, 16, 1                                 // 00000000BC74: D1C800E4 02052122
	v_add3_u32 v228, v34, v228, v231                           // 00000000BC7C: D1FF00E4 079FC922
	v_cndmask_b32_e64 v32, v228, v230, s[78:79]                // 00000000BC84: D1000020 013BCDE4
	v_lshrrev_b32_e32 v32, 16, v32                             // 00000000BC8C: 20404090
	v_cmp_u_f32_e64 s[78:79], v35, v35                         // 00000000BC90: D048004E 00024723
	v_bfe_u32 v228, v35, 16, 1                                 // 00000000BC98: D1C800E4 02052123
	v_add3_u32 v228, v35, v228, v231                           // 00000000BCA0: D1FF00E4 079FC923
	v_cndmask_b32_e64 v33, v228, v230, s[78:79]                // 00000000BCA8: D1000021 013BCDE4
	v_and_or_b32 v191, v33, v229, v32                          // 00000000BCB0: D20100BF 0483CB21
	v_mov_b32_e32 v34, v204                                    // 00000000BCB8: 7E4403CC
	v_mov_b32_e32 v35, v205                                    // 00000000BCBC: 7E4603CD
	v_cmp_u_f32_e64 s[78:79], v34, v34                         // 00000000BCC0: D048004E 00024522
	v_bfe_u32 v228, v34, 16, 1                                 // 00000000BCC8: D1C800E4 02052122
	v_add3_u32 v228, v34, v228, v231                           // 00000000BCD0: D1FF00E4 079FC922
	v_cndmask_b32_e64 v32, v228, v230, s[78:79]                // 00000000BCD8: D1000020 013BCDE4
	v_lshrrev_b32_e32 v32, 16, v32                             // 00000000BCE0: 20404090
	v_cmp_u_f32_e64 s[78:79], v35, v35                         // 00000000BCE4: D048004E 00024723
	v_bfe_u32 v228, v35, 16, 1                                 // 00000000BCEC: D1C800E4 02052123
	v_add3_u32 v228, v35, v228, v231                           // 00000000BCF4: D1FF00E4 079FC923
	v_cndmask_b32_e64 v33, v228, v230, s[78:79]                // 00000000BCFC: D1000021 013BCDE4
	v_and_or_b32 v192, v33, v229, v32                          // 00000000BD04: D20100C0 0483CB21
	v_mov_b32_e32 v34, v206                                    // 00000000BD0C: 7E4403CE
	v_mov_b32_e32 v35, v207                                    // 00000000BD10: 7E4603CF
	v_cmp_u_f32_e64 s[78:79], v34, v34                         // 00000000BD14: D048004E 00024522
	v_bfe_u32 v228, v34, 16, 1                                 // 00000000BD1C: D1C800E4 02052122
	v_add3_u32 v228, v34, v228, v231                           // 00000000BD24: D1FF00E4 079FC922
	v_cndmask_b32_e64 v32, v228, v230, s[78:79]                // 00000000BD2C: D1000020 013BCDE4
	v_lshrrev_b32_e32 v32, 16, v32                             // 00000000BD34: 20404090
	v_cmp_u_f32_e64 s[78:79], v35, v35                         // 00000000BD38: D048004E 00024723
	v_bfe_u32 v228, v35, 16, 1                                 // 00000000BD40: D1C800E4 02052123
	v_add3_u32 v228, v35, v228, v231                           // 00000000BD48: D1FF00E4 079FC923
	v_cndmask_b32_e64 v33, v228, v230, s[78:79]                // 00000000BD50: D1000021 013BCDE4
	v_and_or_b32 v193, v33, v229, v32                          // 00000000BD58: D20100C1 0483CB21
	v_mov_b32_e32 v34, v208                                    // 00000000BD60: 7E4403D0
	v_mov_b32_e32 v35, v209                                    // 00000000BD64: 7E4603D1
	v_cmp_u_f32_e64 s[78:79], v34, v34                         // 00000000BD68: D048004E 00024522
	v_bfe_u32 v228, v34, 16, 1                                 // 00000000BD70: D1C800E4 02052122
	v_add3_u32 v228, v34, v228, v231                           // 00000000BD78: D1FF00E4 079FC922
	v_cndmask_b32_e64 v32, v228, v230, s[78:79]                // 00000000BD80: D1000020 013BCDE4
	v_lshrrev_b32_e32 v32, 16, v32                             // 00000000BD88: 20404090
	v_cmp_u_f32_e64 s[78:79], v35, v35                         // 00000000BD8C: D048004E 00024723
	v_bfe_u32 v228, v35, 16, 1                                 // 00000000BD94: D1C800E4 02052123
	v_add3_u32 v228, v35, v228, v231                           // 00000000BD9C: D1FF00E4 079FC923
	v_cndmask_b32_e64 v33, v228, v230, s[78:79]                // 00000000BDA4: D1000021 013BCDE4
	v_and_or_b32 v194, v33, v229, v32                          // 00000000BDAC: D20100C2 0483CB21
	v_mov_b32_e32 v34, v210                                    // 00000000BDB4: 7E4403D2
	v_mov_b32_e32 v35, v211                                    // 00000000BDB8: 7E4603D3
	v_cmp_u_f32_e64 s[78:79], v34, v34                         // 00000000BDBC: D048004E 00024522
	v_bfe_u32 v228, v34, 16, 1                                 // 00000000BDC4: D1C800E4 02052122
	v_add3_u32 v228, v34, v228, v231                           // 00000000BDCC: D1FF00E4 079FC922
	v_cndmask_b32_e64 v32, v228, v230, s[78:79]                // 00000000BDD4: D1000020 013BCDE4
	v_lshrrev_b32_e32 v32, 16, v32                             // 00000000BDDC: 20404090
	v_cmp_u_f32_e64 s[78:79], v35, v35                         // 00000000BDE0: D048004E 00024723
	v_bfe_u32 v228, v35, 16, 1                                 // 00000000BDE8: D1C800E4 02052123
	v_add3_u32 v228, v35, v228, v231                           // 00000000BDF0: D1FF00E4 079FC923
	v_cndmask_b32_e64 v33, v228, v230, s[78:79]                // 00000000BDF8: D1000021 013BCDE4
	v_and_or_b32 v195, v33, v229, v32                          // 00000000BE00: D20100C3 0483CB21
	ds_write_b64 v27, v[188:189] offset:8704                   // 00000000BE08: D89A2200 0000BC1B
	ds_write_b64 v27, v[190:191] offset:9248                   // 00000000BE10: D89A2420 0000BE1B
	ds_write_b64 v27, v[192:193] offset:9792                   // 00000000BE18: D89A2640 0000C01B
	ds_write_b64 v27, v[194:195] offset:10336                  // 00000000BE20: D89A2860 0000C21B
	s_waitcnt lgkmcnt(0)                                       // 00000000BE28: BF8CC07F
	s_barrier                                                  // 00000000BE2C: BF8A0000
	ds_read_b64 v[188:189], v26 offset:8704                    // 00000000BE30: D8EC2200 BC00001A
	ds_read_b64 v[190:191], v26 offset:8832                    // 00000000BE38: D8EC2280 BE00001A
	ds_read_b64 v[192:193], v26 offset:8768                    // 00000000BE40: D8EC2240 C000001A
	ds_read_b64 v[194:195], v26 offset:8896                    // 00000000BE48: D8EC22C0 C200001A
	s_waitcnt lgkmcnt(0)                                       // 00000000BE50: BF8CC07F
	s_mov_b32 s70, s53                                         // 00000000BE54: BEC60035
	buffer_store_dwordx4 v[188:191], v10, s[40:43], 0 idxen    // 00000000BE58: E07C2000 800ABC0A
	s_mul_i32 s60, 2, s70                                      // 00000000BE60: 923C4682
	v_add_u32_e32 v10, s60, v10                                // 00000000BE64: 6814143C
	buffer_store_dwordx4 v[192:195], v10, s[40:43], 0 idxen    // 00000000BE68: E07C2000 800AC00A
	s_mul_i32 s60, 2, s70                                      // 00000000BE70: 923C4682
	v_add_u32_e32 v10, s60, v10                                // 00000000BE74: 6814143C
	s_mul_i32 s60, 12, s70                                     // 00000000BE78: 923C468C
	v_add_u32_e32 v10, s60, v10                                // 00000000BE7C: 6814143C
	s_cmp_ge_i32 2, s72                                        // 00000000BE80: BF034882
	s_cbranch_scc1 label_210E                                  // 00000000BE84: BF8500C8
	v_mov_b32_e32 v34, v212                                    // 00000000BE88: 7E4403D4
	v_mov_b32_e32 v35, v213                                    // 00000000BE8C: 7E4603D5
	v_cmp_u_f32_e64 s[78:79], v34, v34                         // 00000000BE90: D048004E 00024522
	v_bfe_u32 v228, v34, 16, 1                                 // 00000000BE98: D1C800E4 02052122
	v_add3_u32 v228, v34, v228, v231                           // 00000000BEA0: D1FF00E4 079FC922
	v_cndmask_b32_e64 v32, v228, v230, s[78:79]                // 00000000BEA8: D1000020 013BCDE4
	v_lshrrev_b32_e32 v32, 16, v32                             // 00000000BEB0: 20404090
	v_cmp_u_f32_e64 s[78:79], v35, v35                         // 00000000BEB4: D048004E 00024723
	v_bfe_u32 v228, v35, 16, 1                                 // 00000000BEBC: D1C800E4 02052123
	v_add3_u32 v228, v35, v228, v231                           // 00000000BEC4: D1FF00E4 079FC923
	v_cndmask_b32_e64 v33, v228, v230, s[78:79]                // 00000000BECC: D1000021 013BCDE4
	v_and_or_b32 v196, v33, v229, v32                          // 00000000BED4: D20100C4 0483CB21
	v_mov_b32_e32 v34, v214                                    // 00000000BEDC: 7E4403D6
	v_mov_b32_e32 v35, v215                                    // 00000000BEE0: 7E4603D7
	v_cmp_u_f32_e64 s[78:79], v34, v34                         // 00000000BEE4: D048004E 00024522
	v_bfe_u32 v228, v34, 16, 1                                 // 00000000BEEC: D1C800E4 02052122
	v_add3_u32 v228, v34, v228, v231                           // 00000000BEF4: D1FF00E4 079FC922
	v_cndmask_b32_e64 v32, v228, v230, s[78:79]                // 00000000BEFC: D1000020 013BCDE4
	v_lshrrev_b32_e32 v32, 16, v32                             // 00000000BF04: 20404090
	v_cmp_u_f32_e64 s[78:79], v35, v35                         // 00000000BF08: D048004E 00024723
	v_bfe_u32 v228, v35, 16, 1                                 // 00000000BF10: D1C800E4 02052123
	v_add3_u32 v228, v35, v228, v231                           // 00000000BF18: D1FF00E4 079FC923
	v_cndmask_b32_e64 v33, v228, v230, s[78:79]                // 00000000BF20: D1000021 013BCDE4
	v_and_or_b32 v197, v33, v229, v32                          // 00000000BF28: D20100C5 0483CB21
	v_mov_b32_e32 v34, v216                                    // 00000000BF30: 7E4403D8
	v_mov_b32_e32 v35, v217                                    // 00000000BF34: 7E4603D9
	v_cmp_u_f32_e64 s[78:79], v34, v34                         // 00000000BF38: D048004E 00024522
	v_bfe_u32 v228, v34, 16, 1                                 // 00000000BF40: D1C800E4 02052122
	v_add3_u32 v228, v34, v228, v231                           // 00000000BF48: D1FF00E4 079FC922
	v_cndmask_b32_e64 v32, v228, v230, s[78:79]                // 00000000BF50: D1000020 013BCDE4
	v_lshrrev_b32_e32 v32, 16, v32                             // 00000000BF58: 20404090
	v_cmp_u_f32_e64 s[78:79], v35, v35                         // 00000000BF5C: D048004E 00024723
	v_bfe_u32 v228, v35, 16, 1                                 // 00000000BF64: D1C800E4 02052123
	v_add3_u32 v228, v35, v228, v231                           // 00000000BF6C: D1FF00E4 079FC923
	v_cndmask_b32_e64 v33, v228, v230, s[78:79]                // 00000000BF74: D1000021 013BCDE4
	v_and_or_b32 v198, v33, v229, v32                          // 00000000BF7C: D20100C6 0483CB21
	v_mov_b32_e32 v34, v218                                    // 00000000BF84: 7E4403DA
	v_mov_b32_e32 v35, v219                                    // 00000000BF88: 7E4603DB
	v_cmp_u_f32_e64 s[78:79], v34, v34                         // 00000000BF8C: D048004E 00024522
	v_bfe_u32 v228, v34, 16, 1                                 // 00000000BF94: D1C800E4 02052122
	v_add3_u32 v228, v34, v228, v231                           // 00000000BF9C: D1FF00E4 079FC922
	v_cndmask_b32_e64 v32, v228, v230, s[78:79]                // 00000000BFA4: D1000020 013BCDE4
	v_lshrrev_b32_e32 v32, 16, v32                             // 00000000BFAC: 20404090
	v_cmp_u_f32_e64 s[78:79], v35, v35                         // 00000000BFB0: D048004E 00024723
	v_bfe_u32 v228, v35, 16, 1                                 // 00000000BFB8: D1C800E4 02052123
	v_add3_u32 v228, v35, v228, v231                           // 00000000BFC0: D1FF00E4 079FC923
	v_cndmask_b32_e64 v33, v228, v230, s[78:79]                // 00000000BFC8: D1000021 013BCDE4
	v_and_or_b32 v199, v33, v229, v32                          // 00000000BFD0: D20100C7 0483CB21
	v_mov_b32_e32 v34, v220                                    // 00000000BFD8: 7E4403DC
	v_mov_b32_e32 v35, v221                                    // 00000000BFDC: 7E4603DD
	v_cmp_u_f32_e64 s[78:79], v34, v34                         // 00000000BFE0: D048004E 00024522
	v_bfe_u32 v228, v34, 16, 1                                 // 00000000BFE8: D1C800E4 02052122
	v_add3_u32 v228, v34, v228, v231                           // 00000000BFF0: D1FF00E4 079FC922
	v_cndmask_b32_e64 v32, v228, v230, s[78:79]                // 00000000BFF8: D1000020 013BCDE4
	v_lshrrev_b32_e32 v32, 16, v32                             // 00000000C000: 20404090
	v_cmp_u_f32_e64 s[78:79], v35, v35                         // 00000000C004: D048004E 00024723
	v_bfe_u32 v228, v35, 16, 1                                 // 00000000C00C: D1C800E4 02052123
	v_add3_u32 v228, v35, v228, v231                           // 00000000C014: D1FF00E4 079FC923
	v_cndmask_b32_e64 v33, v228, v230, s[78:79]                // 00000000C01C: D1000021 013BCDE4
	v_and_or_b32 v200, v33, v229, v32                          // 00000000C024: D20100C8 0483CB21
	v_mov_b32_e32 v34, v222                                    // 00000000C02C: 7E4403DE
	v_mov_b32_e32 v35, v223                                    // 00000000C030: 7E4603DF
	v_cmp_u_f32_e64 s[78:79], v34, v34                         // 00000000C034: D048004E 00024522
	v_bfe_u32 v228, v34, 16, 1                                 // 00000000C03C: D1C800E4 02052122
	v_add3_u32 v228, v34, v228, v231                           // 00000000C044: D1FF00E4 079FC922
	v_cndmask_b32_e64 v32, v228, v230, s[78:79]                // 00000000C04C: D1000020 013BCDE4
	v_lshrrev_b32_e32 v32, 16, v32                             // 00000000C054: 20404090
	v_cmp_u_f32_e64 s[78:79], v35, v35                         // 00000000C058: D048004E 00024723
	v_bfe_u32 v228, v35, 16, 1                                 // 00000000C060: D1C800E4 02052123
	v_add3_u32 v228, v35, v228, v231                           // 00000000C068: D1FF00E4 079FC923
	v_cndmask_b32_e64 v33, v228, v230, s[78:79]                // 00000000C070: D1000021 013BCDE4
	v_and_or_b32 v201, v33, v229, v32                          // 00000000C078: D20100C9 0483CB21
	v_mov_b32_e32 v34, v224                                    // 00000000C080: 7E4403E0
	v_mov_b32_e32 v35, v225                                    // 00000000C084: 7E4603E1
	v_cmp_u_f32_e64 s[78:79], v34, v34                         // 00000000C088: D048004E 00024522
	v_bfe_u32 v228, v34, 16, 1                                 // 00000000C090: D1C800E4 02052122
	v_add3_u32 v228, v34, v228, v231                           // 00000000C098: D1FF00E4 079FC922
	v_cndmask_b32_e64 v32, v228, v230, s[78:79]                // 00000000C0A0: D1000020 013BCDE4
	v_lshrrev_b32_e32 v32, 16, v32                             // 00000000C0A8: 20404090
	v_cmp_u_f32_e64 s[78:79], v35, v35                         // 00000000C0AC: D048004E 00024723
	v_bfe_u32 v228, v35, 16, 1                                 // 00000000C0B4: D1C800E4 02052123
	v_add3_u32 v228, v35, v228, v231                           // 00000000C0BC: D1FF00E4 079FC923
	v_cndmask_b32_e64 v33, v228, v230, s[78:79]                // 00000000C0C4: D1000021 013BCDE4
	v_and_or_b32 v202, v33, v229, v32                          // 00000000C0CC: D20100CA 0483CB21
	v_mov_b32_e32 v34, v226                                    // 00000000C0D4: 7E4403E2
	v_mov_b32_e32 v35, v227                                    // 00000000C0D8: 7E4603E3
	v_cmp_u_f32_e64 s[78:79], v34, v34                         // 00000000C0DC: D048004E 00024522
	v_bfe_u32 v228, v34, 16, 1                                 // 00000000C0E4: D1C800E4 02052122
	v_add3_u32 v228, v34, v228, v231                           // 00000000C0EC: D1FF00E4 079FC922
	v_cndmask_b32_e64 v32, v228, v230, s[78:79]                // 00000000C0F4: D1000020 013BCDE4
	v_lshrrev_b32_e32 v32, 16, v32                             // 00000000C0FC: 20404090
	v_cmp_u_f32_e64 s[78:79], v35, v35                         // 00000000C100: D048004E 00024723
	v_bfe_u32 v228, v35, 16, 1                                 // 00000000C108: D1C800E4 02052123
	v_add3_u32 v228, v35, v228, v231                           // 00000000C110: D1FF00E4 079FC923
	v_cndmask_b32_e64 v33, v228, v230, s[78:79]                // 00000000C118: D1000021 013BCDE4
	v_and_or_b32 v203, v33, v229, v32                          // 00000000C120: D20100CB 0483CB21
	ds_write_b64 v27, v[196:197] offset:17408                  // 00000000C128: D89A4400 0000C41B
	ds_write_b64 v27, v[198:199] offset:17952                  // 00000000C130: D89A4620 0000C61B
	ds_write_b64 v27, v[200:201] offset:18496                  // 00000000C138: D89A4840 0000C81B
	ds_write_b64 v27, v[202:203] offset:19040                  // 00000000C140: D89A4A60 0000CA1B
	s_waitcnt lgkmcnt(0)                                       // 00000000C148: BF8CC07F
	s_barrier                                                  // 00000000C14C: BF8A0000
	ds_read_b64 v[196:197], v26 offset:17408                   // 00000000C150: D8EC4400 C400001A
	ds_read_b64 v[198:199], v26 offset:17536                   // 00000000C158: D8EC4480 C600001A
	ds_read_b64 v[200:201], v26 offset:17472                   // 00000000C160: D8EC4440 C800001A
	ds_read_b64 v[202:203], v26 offset:17600                   // 00000000C168: D8EC44C0 CA00001A
	s_waitcnt lgkmcnt(0)                                       // 00000000C170: BF8CC07F
	s_mov_b32 s70, s53                                         // 00000000C174: BEC60035
	buffer_store_dwordx4 v[196:199], v10, s[40:43], 0 idxen    // 00000000C178: E07C2000 800AC40A
	s_mul_i32 s60, 2, s70                                      // 00000000C180: 923C4682
	v_add_u32_e32 v10, s60, v10                                // 00000000C184: 6814143C
	buffer_store_dwordx4 v[200:203], v10, s[40:43], 0 idxen    // 00000000C188: E07C2000 800AC80A
	s_mul_i32 s60, 2, s70                                      // 00000000C190: 923C4682
	v_add_u32_e32 v10, s60, v10                                // 00000000C194: 6814143C
	s_mul_i32 s60, 12, s70                                     // 00000000C198: 923C468C
	v_add_u32_e32 v10, s60, v10                                // 00000000C19C: 6814143C
	s_cmp_ge_i32 3, s72                                        // 00000000C1A0: BF034883
	s_cbranch_scc1 label_210E                                  // 00000000C1A4: BF850000

000000000000c1a8 <label_210E>:
	s_waitcnt vmcnt(0) expcnt(0) lgkmcnt(0)                    // 00000000C1A8: BF8C0000
	s_sub_i32 s60, s77, 1                                      // 00000000C1AC: 81BC814D
	s_sub_i32 s2, s60, s2                                      // 00000000C1B0: 8182023C
	s_addk_i32 s75, 0x1                                        // 00000000C1B4: B74B0001
	s_cmp_lt_i32 s75, s76                                      // 00000000C1B8: BF044C4B
	s_cbranch_scc1 label_0161                                  // 00000000C1BC: BF85E071

000000000000c1c0 <label_2114>:
	s_waitcnt vmcnt(0) expcnt(0) lgkmcnt(0)                    // 00000000C1C0: BF8C0000
	s_endpgm                                                   // 00000000C1C4: BF810000
